;; amdgpu-corpus repo=ROCm/rocFFT kind=compiled arch=gfx1201 opt=O3
	.text
	.amdgcn_target "amdgcn-amd-amdhsa--gfx1201"
	.amdhsa_code_object_version 6
	.protected	bluestein_single_back_len1372_dim1_half_op_CI_CI ; -- Begin function bluestein_single_back_len1372_dim1_half_op_CI_CI
	.globl	bluestein_single_back_len1372_dim1_half_op_CI_CI
	.p2align	8
	.type	bluestein_single_back_len1372_dim1_half_op_CI_CI,@function
bluestein_single_back_len1372_dim1_half_op_CI_CI: ; @bluestein_single_back_len1372_dim1_half_op_CI_CI
; %bb.0:
	s_load_b128 s[12:15], s[0:1], 0x28
	v_mul_u32_u24_e32 v1, 0x29d, v0
	v_mov_b32_e32 v25, 0
	s_mov_b32 s2, exec_lo
	s_delay_alu instid0(VALU_DEP_2) | instskip(NEXT) | instid1(VALU_DEP_1)
	v_lshrrev_b32_e32 v1, 16, v1
	v_lshl_add_u32 v24, ttmp9, 1, v1
	s_wait_kmcnt 0x0
	s_delay_alu instid0(VALU_DEP_1)
	v_cmpx_gt_u64_e64 s[12:13], v[24:25]
	s_cbranch_execz .LBB0_2
; %bb.1:
	s_clause 0x1
	s_load_b128 s[4:7], s[0:1], 0x18
	s_load_b128 s[8:11], s[0:1], 0x0
	v_mul_lo_u16 v2, 0x62, v1
	s_movk_i32 s2, 0xf6d0
	s_mov_b32 s3, -1
	s_mov_b32 s26, 0x515a4f1d
	s_load_b64 s[0:1], s[0:1], 0x38
	v_sub_nc_u16 v8, v0, v2
	s_mov_b32 s27, 0x3f47e225
	s_wait_kmcnt 0x0
	s_load_b128 s[16:19], s[4:5], 0x0
	s_wait_kmcnt 0x0
	v_mad_co_u64_u32 v[2:3], null, s18, v24, 0
	s_mul_u64 s[4:5], s[16:17], 0xab8
	s_mul_u64 s[12:13], s[16:17], s[2:3]
	s_delay_alu instid0(VALU_DEP_1) | instskip(NEXT) | instid1(VALU_DEP_1)
	v_mov_b32_e32 v0, v3
	v_mad_co_u64_u32 v[6:7], null, s19, v24, v[0:1]
	s_delay_alu instid0(VALU_DEP_1) | instskip(NEXT) | instid1(VALU_DEP_1)
	v_dual_mov_b32 v3, v6 :: v_dual_and_b32 v68, 0xffff, v8
	v_mad_co_u64_u32 v[4:5], null, s16, v68, 0
	v_lshlrev_b32_e32 v73, 2, v68
	v_lshlrev_b32_e32 v31, 1, v68
	s_delay_alu instid0(VALU_DEP_4)
	v_lshlrev_b64_e32 v[2:3], 2, v[2:3]
	s_clause 0x5
	global_load_b32 v57, v73, s[8:9]
	global_load_b32 v55, v73, s[8:9] offset:392
	global_load_b32 v54, v73, s[8:9] offset:784
	;; [unrolled: 1-line block ×5, first 2 shown]
	v_mov_b32_e32 v0, v5
	s_clause 0x6
	global_load_b32 v58, v73, s[8:9] offset:3136
	global_load_b32 v56, v73, s[8:9] offset:3528
	;; [unrolled: 1-line block ×7, first 2 shown]
	v_mad_co_u64_u32 v[9:10], null, s17, v68, v[0:1]
	v_add_co_u32 v0, vcc_lo, s14, v2
	v_add_co_ci_u32_e32 v3, vcc_lo, s15, v3, vcc_lo
	v_and_b32_e32 v1, 1, v1
	s_delay_alu instid0(VALU_DEP_4) | instskip(SKIP_1) | instid1(VALU_DEP_2)
	v_mov_b32_e32 v5, v9
	v_add_co_u32 v9, null, 0x62, v68
	v_lshlrev_b64_e32 v[4:5], 2, v[4:5]
	s_delay_alu instid0(VALU_DEP_1) | instskip(SKIP_1) | instid1(VALU_DEP_2)
	v_add_co_u32 v2, vcc_lo, v0, v4
	s_wait_alu 0xfffd
	v_add_co_ci_u32_e32 v3, vcc_lo, v3, v5, vcc_lo
	s_delay_alu instid0(VALU_DEP_2) | instskip(SKIP_1) | instid1(VALU_DEP_2)
	v_add_co_u32 v4, vcc_lo, v2, s4
	s_wait_alu 0xfffd
	v_add_co_ci_u32_e32 v5, vcc_lo, s5, v3, vcc_lo
	global_load_b32 v0, v[2:3], off
	s_wait_alu 0xfffe
	v_add_co_u32 v2, vcc_lo, v4, s12
	s_wait_alu 0xfffd
	v_add_co_ci_u32_e32 v3, vcc_lo, s13, v5, vcc_lo
	global_load_b32 v6, v[4:5], off
	global_load_b32 v37, v73, s[8:9] offset:5096
	global_load_b32 v7, v[2:3], off
	v_add_co_u32 v2, vcc_lo, v2, s4
	s_wait_alu 0xfffd
	v_add_co_ci_u32_e32 v3, vcc_lo, s5, v3, vcc_lo
	s_delay_alu instid0(VALU_DEP_2) | instskip(SKIP_1) | instid1(VALU_DEP_2)
	v_add_co_u32 v4, vcc_lo, v2, s12
	s_wait_alu 0xfffd
	v_add_co_ci_u32_e32 v5, vcc_lo, s13, v3, vcc_lo
	s_clause 0x1
	global_load_b32 v10, v[2:3], off
	global_load_b32 v11, v[4:5], off
	v_add_co_u32 v2, vcc_lo, v4, s4
	s_wait_alu 0xfffd
	v_add_co_ci_u32_e32 v3, vcc_lo, s5, v5, vcc_lo
	s_delay_alu instid0(VALU_DEP_2) | instskip(SKIP_1) | instid1(VALU_DEP_2)
	v_add_co_u32 v4, vcc_lo, v2, s12
	s_wait_alu 0xfffd
	v_add_co_ci_u32_e32 v5, vcc_lo, s13, v3, vcc_lo
	global_load_b32 v12, v[2:3], off
	v_add_co_u32 v2, vcc_lo, v4, s4
	s_wait_alu 0xfffd
	v_add_co_ci_u32_e32 v3, vcc_lo, s5, v5, vcc_lo
	global_load_b32 v13, v[4:5], off
	global_load_b32 v14, v[2:3], off
	v_add_co_u32 v2, vcc_lo, v2, s12
	s_wait_alu 0xfffd
	v_add_co_ci_u32_e32 v3, vcc_lo, s13, v3, vcc_lo
	s_delay_alu instid0(VALU_DEP_2) | instskip(SKIP_1) | instid1(VALU_DEP_2)
	v_add_co_u32 v4, vcc_lo, v2, s4
	s_wait_alu 0xfffd
	v_add_co_ci_u32_e32 v5, vcc_lo, s5, v3, vcc_lo
	global_load_b32 v15, v[2:3], off
	v_add_co_u32 v2, vcc_lo, v4, s12
	s_wait_alu 0xfffd
	v_add_co_ci_u32_e32 v3, vcc_lo, s13, v5, vcc_lo
	global_load_b32 v17, v[4:5], off
	;; [unrolled: 4-line block ×5, first 2 shown]
	global_load_b32 v4, v[4:5], off
	v_cmp_eq_u32_e32 vcc_lo, 1, v1
	s_load_b128 s[4:7], s[6:7], 0x0
	v_and_b32_e32 v2, 1, v68
	v_add_nc_u32_e32 v3, 0x188, v31
	v_cndmask_b32_e64 v16, 0, 0x1570, vcc_lo
	s_delay_alu instid0(VALU_DEP_3) | instskip(NEXT) | instid1(VALU_DEP_2)
	v_lshlrev_b32_e32 v32, 2, v2
	v_add_nc_u32_e32 v71, v16, v73
	v_lshl_add_u32 v75, v68, 3, v16
	v_lshl_add_u32 v76, v9, 3, v16
	;; [unrolled: 1-line block ×3, first 2 shown]
	s_delay_alu instid0(VALU_DEP_4)
	v_add_nc_u32_e32 v70, 0xc00, v71
	v_add_nc_u32_e32 v69, 0x200, v71
	;; [unrolled: 1-line block ×6, first 2 shown]
	s_wait_kmcnt 0x0
	s_mul_u64 s[22:23], s[4:5], 0xab8
	s_mul_u64 s[24:25], s[4:5], s[2:3]
	s_wait_loadcnt 0x1b
	v_lshrrev_b32_e32 v65, 16, v57
	s_wait_loadcnt 0x1a
	v_lshrrev_b32_e32 v64, 16, v55
	s_wait_loadcnt 0x15
	v_lshrrev_b32_e32 v63, 16, v58
	v_lshrrev_b32_e32 v61, 16, v54
	s_wait_loadcnt 0x14
	v_lshrrev_b32_e32 v62, 16, v56
	v_lshrrev_b32_e32 v60, 16, v53
	s_wait_loadcnt 0x10
	v_lshrrev_b32_e32 v66, 16, v59
	v_lshrrev_b32_e32 v52, 16, v49
	;; [unrolled: 1-line block ×6, first 2 shown]
	s_wait_loadcnt 0xf
	v_lshrrev_b32_e32 v40, 16, v38
	s_wait_loadcnt 0xe
	v_lshrrev_b32_e32 v1, 16, v0
	v_mul_f16_e32 v5, v65, v0
	s_wait_loadcnt 0xd
	v_lshrrev_b32_e32 v22, 16, v6
	s_delay_alu instid0(VALU_DEP_3)
	v_mul_f16_e32 v21, v65, v1
	v_mul_f16_e32 v23, v66, v6
	v_fma_f16 v1, v57, v1, -v5
	s_wait_loadcnt 0xb
	v_lshrrev_b32_e32 v5, 16, v7
	v_lshrrev_b32_e32 v39, 16, v37
	v_fmac_f16_e32 v21, v57, v0
	v_mul_f16_e32 v0, v66, v22
	v_fma_f16 v22, v59, v22, -v23
	v_mul_f16_e32 v23, v64, v7
	s_delay_alu instid0(VALU_DEP_4) | instskip(NEXT) | instid1(VALU_DEP_4)
	v_pack_b32_f16 v1, v21, v1
	v_fmac_f16_e32 v0, v59, v6
	v_mul_f16_e32 v6, v64, v5
	s_wait_loadcnt 0xa
	v_lshrrev_b32_e32 v21, 16, v10
	v_fma_f16 v5, v55, v5, -v23
	v_mul_f16_e32 v25, v63, v10
	v_pack_b32_f16 v0, v0, v22
	v_fmac_f16_e32 v6, v55, v7
	v_mul_f16_e32 v7, v63, v21
	s_wait_loadcnt 0x9
	v_lshrrev_b32_e32 v22, 16, v11
	v_mul_f16_e32 v23, v61, v11
	ds_store_b32 v71, v0 offset:2744
	v_pack_b32_f16 v0, v6, v5
	v_fmac_f16_e32 v7, v58, v10
	s_wait_loadcnt 0x8
	v_lshrrev_b32_e32 v10, 16, v12
	v_fma_f16 v21, v58, v21, -v25
	v_mul_f16_e32 v5, v61, v22
	v_fma_f16 v6, v54, v22, -v23
	v_mul_f16_e32 v22, v62, v12
	ds_store_2addr_b32 v71, v1, v0 offset1:98
	v_mul_f16_e32 v1, v62, v10
	v_pack_b32_f16 v0, v7, v21
	v_fmac_f16_e32 v5, v54, v11
	s_wait_loadcnt 0x7
	v_lshrrev_b32_e32 v7, 16, v13
	v_fma_f16 v10, v56, v10, -v22
	v_mul_f16_e32 v11, v60, v13
	v_fmac_f16_e32 v1, v56, v12
	s_wait_loadcnt 0x6
	v_lshrrev_b32_e32 v12, 16, v14
	v_mul_f16_e32 v21, v52, v14
	v_pack_b32_f16 v5, v5, v6
	v_mul_f16_e32 v6, v60, v7
	v_fma_f16 v7, v53, v7, -v11
	v_pack_b32_f16 v1, v1, v10
	v_mul_f16_e32 v10, v52, v12
	v_fma_f16 v11, v49, v12, -v21
	s_wait_loadcnt 0x5
	v_lshrrev_b32_e32 v12, 16, v15
	v_fmac_f16_e32 v6, v53, v13
	v_mul_f16_e32 v13, v50, v15
	ds_store_2addr_b32 v70, v0, v1 offset0:16 offset1:114
	v_fmac_f16_e32 v10, v49, v14
	v_mul_f16_e32 v1, v50, v12
	v_pack_b32_f16 v0, v6, v7
	v_fma_f16 v6, v47, v12, -v13
	s_wait_loadcnt 0x4
	v_lshrrev_b32_e32 v7, 16, v17
	v_mul_f16_e32 v12, v48, v17
	v_pack_b32_f16 v10, v10, v11
	v_fmac_f16_e32 v1, v47, v15
	s_wait_loadcnt 0x3
	v_lshrrev_b32_e32 v11, 16, v18
	v_mul_f16_e32 v13, v48, v7
	v_fma_f16 v7, v45, v7, -v12
	v_mul_f16_e32 v12, v46, v18
	v_pack_b32_f16 v1, v1, v6
	v_mul_f16_e32 v6, v46, v11
	s_wait_loadcnt 0x2
	v_lshrrev_b32_e32 v14, 16, v19
	s_wait_loadcnt 0x1
	v_lshrrev_b32_e32 v15, 16, v20
	v_fma_f16 v11, v42, v11, -v12
	v_mul_f16_e32 v12, v43, v19
	v_fmac_f16_e32 v6, v42, v18
	s_wait_loadcnt 0x0
	v_lshrrev_b32_e32 v18, 16, v4
	v_fmac_f16_e32 v13, v45, v17
	v_mul_f16_e32 v17, v43, v14
	v_fma_f16 v12, v41, v14, -v12
	v_mul_f16_e32 v14, v40, v20
	v_mul_f16_e32 v21, v40, v15
	;; [unrolled: 1-line block ×4, first 2 shown]
	v_fmac_f16_e32 v17, v41, v19
	v_fma_f16 v14, v38, v15, -v14
	v_fmac_f16_e32 v21, v38, v20
	v_fma_f16 v15, v37, v18, -v22
	v_fmac_f16_e32 v23, v37, v4
	v_pack_b32_f16 v4, v13, v7
	v_pack_b32_f16 v6, v6, v11
	;; [unrolled: 1-line block ×5, first 2 shown]
	ds_store_2addr_b32 v69, v5, v0 offset0:68 offset1:166
	ds_store_2addr_b32 v67, v10, v4 offset0:84 offset1:182
	;; [unrolled: 1-line block ×3, first 2 shown]
	ds_store_b32 v71, v11 offset:2352
	ds_store_2addr_b32 v44, v7, v12 offset0:152 offset1:250
	global_wb scope:SCOPE_SE
	s_wait_dscnt 0x0
	s_barrier_signal -1
	s_barrier_wait -1
	global_inv scope:SCOPE_SE
	ds_load_2addr_b32 v[0:1], v71 offset1:98
	ds_load_2addr_b32 v[10:11], v72 offset0:76 offset1:174
	ds_load_2addr_b32 v[12:13], v70 offset0:16 offset1:114
	;; [unrolled: 1-line block ×6, first 2 shown]
	v_add_nc_u32_e32 v5, 0x24c, v31
	v_add_nc_u32_e32 v6, 0x310, v31
	;; [unrolled: 1-line block ×4, first 2 shown]
	global_wb scope:SCOPE_SE
	s_wait_dscnt 0x0
	v_lshl_add_u32 v79, v5, 2, v16
	v_lshl_add_u32 v80, v6, 2, v16
	;; [unrolled: 1-line block ×4, first 2 shown]
	s_barrier_signal -1
	s_barrier_wait -1
	global_inv scope:SCOPE_SE
	v_and_or_b32 v7, 0x7fc, v7, v2
	v_and_or_b32 v4, 0x5fc, v4, v2
	v_pk_add_f16 v23, v0, v11 neg_lo:[0,1] neg_hi:[0,1]
	v_pk_add_f16 v12, v1, v12 neg_lo:[0,1] neg_hi:[0,1]
	;; [unrolled: 1-line block ×7, first 2 shown]
	v_pk_fma_f16 v22, v0, 2.0, v23 op_sel_hi:[1,0,1] neg_lo:[0,0,1] neg_hi:[0,0,1]
	v_pk_fma_f16 v11, v1, 2.0, v12 op_sel_hi:[1,0,1] neg_lo:[0,0,1] neg_hi:[0,0,1]
	;; [unrolled: 1-line block ×7, first 2 shown]
	ds_store_b64 v75, v[22:23]
	ds_store_b64 v76, v[11:12]
	;; [unrolled: 1-line block ×7, first 2 shown]
	global_wb scope:SCOPE_SE
	s_wait_dscnt 0x0
	s_barrier_signal -1
	s_barrier_wait -1
	global_inv scope:SCOPE_SE
	global_load_b32 v74, v32, s[10:11]
	v_and_or_b32 v11, 0xfc, v31, v2
	v_lshlrev_b32_e32 v12, 1, v9
	v_and_or_b32 v25, 0x3fc, v5, v2
	v_and_or_b32 v27, 0x7fc, v6, v2
	;; [unrolled: 1-line block ×3, first 2 shown]
	v_lshl_add_u32 v94, v11, 2, v16
	v_and_or_b32 v21, 0x1fc, v12, v2
	ds_load_2addr_b32 v[5:6], v71 offset1:98
	ds_load_2addr_b32 v[11:12], v72 offset0:76 offset1:174
	ds_load_2addr_b32 v[2:3], v70 offset0:16 offset1:114
	ds_load_2addr_b32 v[13:14], v67 offset0:84 offset1:182
	ds_load_2addr_b32 v[19:20], v44 offset0:152 offset1:250
	v_lshl_add_u32 v101, v25, 2, v16
	v_lshl_add_u32 v99, v21, 2, v16
	ds_load_2addr_b32 v[21:22], v69 offset0:68 offset1:166
	ds_load_2addr_b32 v[25:26], v51 offset0:136 offset1:234
	v_lshl_add_u32 v103, v7, 2, v16
	v_lshl_add_u32 v102, v27, 2, v16
	v_lshl_add_u32 v104, v4, 2, v16
	v_lshl_add_u32 v100, v23, 2, v16
	v_and_b32_e32 v10, 3, v68
	v_and_b32_e32 v15, 3, v9
	global_wb scope:SCOPE_SE
	s_wait_loadcnt_dscnt 0x0
	s_barrier_signal -1
	s_barrier_wait -1
	v_mad_co_u64_u32 v[0:1], null, v10, 24, s[10:11]
	v_mad_co_u64_u32 v[17:18], null, v15, 24, s[10:11]
	v_lshrrev_b32_e32 v7, 16, v12
	v_lshrrev_b32_e32 v27, 16, v2
	;; [unrolled: 1-line block ×14, first 2 shown]
	global_inv scope:SCOPE_SE
	v_lshrrev_b32_e32 v105, 16, v74
	s_delay_alu instid0(VALU_DEP_1)
	v_mul_f16_e32 v83, v12, v105
	v_mul_f16_e32 v97, v7, v105
	;; [unrolled: 1-line block ×14, first 2 shown]
	v_fmac_f16_e32 v83, v7, v74
	v_fma_f16 v7, v12, v74, -v97
	v_fma_f16 v2, v2, v74, -v84
	v_fmac_f16_e32 v85, v27, v74
	v_fma_f16 v3, v3, v74, -v86
	v_fmac_f16_e32 v87, v28, v74
	v_fma_f16 v13, v13, v74, -v88
	v_fmac_f16_e32 v89, v29, v74
	v_fma_f16 v14, v14, v74, -v90
	v_fmac_f16_e32 v93, v30, v74
	v_fma_f16 v19, v19, v74, -v91
	v_fma_f16 v20, v20, v74, -v92
	v_fmac_f16_e32 v95, v31, v74
	v_fmac_f16_e32 v96, v32, v74
	v_sub_f16_e32 v7, v5, v7
	v_sub_f16_e32 v12, v4, v83
	;; [unrolled: 1-line block ×14, first 2 shown]
	v_fma_f16 v5, v5, 2.0, -v7
	v_fma_f16 v4, v4, 2.0, -v12
	;; [unrolled: 1-line block ×14, first 2 shown]
	v_pack_b32_f16 v7, v7, v12
	v_pack_b32_f16 v4, v5, v4
	;; [unrolled: 1-line block ×14, first 2 shown]
	ds_store_2addr_b32 v94, v4, v7 offset1:2
	ds_store_2addr_b32 v99, v5, v2 offset1:2
	;; [unrolled: 1-line block ×7, first 2 shown]
	global_wb scope:SCOPE_SE
	s_wait_dscnt 0x0
	s_barrier_signal -1
	s_barrier_wait -1
	global_inv scope:SCOPE_SE
	s_clause 0x3
	global_load_b128 v[4:7], v[0:1], off offset:8
	global_load_b64 v[25:26], v[0:1], off offset:24
	global_load_b128 v[0:3], v[17:18], off offset:8
	global_load_b64 v[27:28], v[17:18], off offset:24
	v_lshrrev_b16 v11, 2, v8
	v_lshrrev_b16 v12, 2, v9
	v_lshrrev_b32_e32 v13, 2, v68
	v_lshrrev_b32_e32 v14, 2, v9
	s_delay_alu instid0(VALU_DEP_4) | instskip(NEXT) | instid1(VALU_DEP_4)
	v_and_b32_e32 v11, 63, v11
	v_and_b32_e32 v12, 63, v12
	s_delay_alu instid0(VALU_DEP_2) | instskip(NEXT) | instid1(VALU_DEP_2)
	v_mul_lo_u16 v11, v11, 37
	v_mul_lo_u16 v12, v12, 37
	s_delay_alu instid0(VALU_DEP_2) | instskip(NEXT) | instid1(VALU_DEP_2)
	v_lshrrev_b16 v19, 8, v11
	v_lshrrev_b16 v17, 8, v12
	v_mul_u32_u24_e32 v11, 28, v13
	v_mul_u32_u24_e32 v12, 28, v14
	s_delay_alu instid0(VALU_DEP_4) | instskip(NEXT) | instid1(VALU_DEP_4)
	v_mul_lo_u16 v13, v19, 28
	v_mul_lo_u16 v14, v17, 28
	s_delay_alu instid0(VALU_DEP_4) | instskip(NEXT) | instid1(VALU_DEP_4)
	v_or_b32_e32 v31, v11, v10
	v_or_b32_e32 v32, v12, v15
	v_and_b32_e32 v19, 0xffff, v19
	v_sub_nc_u16 v18, v8, v13
	v_sub_nc_u16 v33, v9, v14
	ds_load_2addr_b32 v[10:11], v69 offset0:68 offset1:166
	ds_load_2addr_b32 v[12:13], v51 offset0:136 offset1:234
	;; [unrolled: 1-line block ×6, first 2 shown]
	ds_load_2addr_b32 v[8:9], v71 offset1:98
	v_lshl_add_u32 v82, v31, 2, v16
	v_lshl_add_u32 v95, v32, 2, v16
	v_and_b32_e32 v18, 0xff, v18
	v_and_b32_e32 v85, 0xff, v33
	global_wb scope:SCOPE_SE
	s_wait_loadcnt_dscnt 0x0
	s_barrier_signal -1
	s_barrier_wait -1
	v_mad_co_u64_u32 v[31:32], null, v18, 24, s[10:11]
	v_mad_co_u64_u32 v[33:34], null, v85, 24, s[10:11]
	global_inv scope:SCOPE_SE
	v_and_b32_e32 v17, 0xffff, v17
	v_lshrrev_b32_e32 v35, 16, v10
	v_lshrrev_b32_e32 v36, 16, v12
	;; [unrolled: 1-line block ×14, first 2 shown]
	v_mul_u32_u24_e32 v17, 0xc4, v17
	v_lshrrev_b32_e32 v128, 16, v4
	v_lshrrev_b32_e32 v126, 16, v5
	;; [unrolled: 1-line block ×12, first 2 shown]
	v_mul_f16_e64 v98, v35, v128
	v_mul_f16_e64 v106, v10, v128
	v_mul_f16_e32 v107, v36, v126
	v_mul_f16_e32 v108, v12, v126
	;; [unrolled: 1-line block ×6, first 2 shown]
	v_mul_f16_e64 v113, v14, v129
	v_mul_f16_e64 v114, v83, v129
	v_mul_f16_e32 v115, v29, v127
	v_mul_f16_e32 v116, v89, v123
	;; [unrolled: 1-line block ×3, first 2 shown]
	v_mul_f16_e64 v130, v11, v123
	v_mul_f16_e64 v131, v90, v124
	;; [unrolled: 1-line block ×11, first 2 shown]
	v_fma_f16 v10, v10, v4, -v98
	v_fma_f16 v12, v12, v5, -v107
	v_fmac_f16_e32 v106, v35, v4
	v_fmac_f16_e32 v108, v36, v5
	;; [unrolled: 1-line block ×4, first 2 shown]
	v_fma_f16 v22, v22, v26, -v110
	v_fma_f16 v20, v20, v25, -v109
	;; [unrolled: 1-line block ×4, first 2 shown]
	v_fmac_f16_e32 v113, v83, v6
	v_fmac_f16_e32 v115, v87, v7
	v_fma_f16 v14, v14, v6, -v114
	v_fma_f16 v29, v29, v7, -v117
	;; [unrolled: 1-line block ×4, first 2 shown]
	v_fmac_f16_e64 v130, v89, v0
	v_fmac_f16_e64 v132, v90, v1
	;; [unrolled: 1-line block ×4, first 2 shown]
	v_fma_f16 v15, v15, v2, -v133
	v_fma_f16 v30, v30, v3, -v135
	v_fmac_f16_e64 v134, v91, v2
	v_fmac_f16_e64 v136, v92, v3
	v_add_f16_e32 v35, v10, v22
	v_sub_f16_e32 v10, v10, v22
	v_add_f16_e32 v22, v106, v111
	v_add_f16_e32 v83, v12, v20
	v_sub_f16_e32 v12, v12, v20
	v_add_f16_e32 v20, v108, v112
	v_sub_f16_e32 v36, v106, v111
	v_sub_f16_e32 v84, v108, v112
	v_add_f16_e32 v86, v14, v29
	v_sub_f16_e32 v14, v29, v14
	v_add_f16_e32 v29, v113, v115
	;; [unrolled: 2-line block ×3, first 2 shown]
	v_sub_f16_e32 v11, v11, v23
	v_add_f16_e64 v23, v130, v138
	v_add_f16_e32 v91, v13, v21
	v_sub_f16_e32 v13, v13, v21
	v_add_f16_e64 v21, v132, v140
	v_sub_f16_e64 v90, v130, v138
	v_sub_f16_e64 v92, v132, v140
	v_add_f16_e32 v93, v15, v30
	v_sub_f16_e32 v15, v30, v15
	v_add_f16_e64 v30, v134, v136
	v_sub_f16_e64 v96, v136, v134
	v_add_f16_e32 v98, v83, v35
	v_add_f16_e32 v106, v20, v22
	v_sub_f16_e32 v107, v35, v86
	v_sub_f16_e32 v108, v86, v83
	;; [unrolled: 1-line block ×4, first 2 shown]
	v_add_f16_e32 v111, v14, v12
	v_sub_f16_e32 v112, v14, v12
	v_add_f16_e32 v113, v87, v84
	v_sub_f16_e32 v114, v87, v84
	v_sub_f16_e32 v35, v83, v35
	;; [unrolled: 1-line block ×5, first 2 shown]
	v_add_f16_e32 v83, v91, v89
	v_add_f16_e32 v84, v21, v23
	v_sub_f16_e32 v115, v89, v93
	v_sub_f16_e32 v116, v93, v91
	;; [unrolled: 1-line block ×3, first 2 shown]
	v_sub_f16_e64 v130, v30, v21
	v_add_f16_e64 v131, v15, v13
	v_sub_f16_e32 v89, v91, v89
	v_sub_f16_e32 v91, v15, v13
	v_sub_f16_e32 v21, v21, v23
	v_add_f16_e32 v23, v96, v92
	v_sub_f16_e64 v132, v96, v92
	v_sub_f16_e32 v13, v13, v11
	v_sub_f16_e32 v92, v92, v90
	v_add_f16_e32 v86, v86, v98
	v_add_f16_e32 v29, v29, v106
	v_sub_f16_e32 v14, v10, v14
	v_sub_f16_e32 v87, v36, v87
	v_mul_f16_e32 v98, 0xb846, v112
	v_add_f16_e32 v36, v113, v36
	v_mul_f16_e32 v106, 0x3a52, v107
	v_mul_f16_e32 v107, 0x3a52, v109
	;; [unrolled: 1-line block ×5, first 2 shown]
	v_add_f16_e32 v83, v93, v83
	v_mul_f16_e32 v93, 0x2b26, v110
	v_add_f16_e32 v30, v30, v84
	v_sub_f16_e32 v15, v11, v15
	v_sub_f16_e32 v96, v90, v96
	v_add_f16_e32 v10, v111, v10
	v_mul_f16_e32 v111, 0x2b26, v108
	v_add_f16_e64 v11, v131, v11
	v_mul_f16_e32 v84, 0xb846, v91
	v_mul_f16_e32 v91, 0x3a52, v117
	v_mul_f16_e64 v114, 0xb846, v132
	v_mul_f16_e32 v117, 0xbb00, v13
	v_mul_f16_e64 v131, 0xbb00, v92
	v_add_f16_e32 v88, v88, v29
	v_add_f16_e32 v8, v8, v86
	;; [unrolled: 1-line block ×3, first 2 shown]
	v_mul_f16_e32 v90, 0x3a52, v115
	v_mul_f16_e32 v115, 0x2b26, v116
	v_mul_f16_e64 v132, 0x2b26, v130
	v_fma_f16 v12, v12, 0x3b00, -v98
	v_fmamk_f16 v98, v14, 0x3574, v98
	v_fmac_f16_e32 v112, 0xb574, v14
	v_fma_f16 v14, v22, 0x3b00, -v109
	v_fmamk_f16 v22, v87, 0x3574, v109
	v_fmac_f16_e32 v113, 0xb574, v87
	v_fma_f16 v87, v20, 0x39e0, -v93
	v_add_f16_e32 v9, v9, v83
	v_add_f16_e32 v93, v97, v30
	v_fmamk_f16 v108, v108, 0x2b26, v106
	v_fma_f16 v111, v35, 0x39e0, -v111
	v_fma_f16 v35, v35, 0xb9e0, -v106
	v_fmamk_f16 v106, v110, 0x2b26, v107
	v_fma_f16 v20, v20, 0xb9e0, -v107
	v_fmamk_f16 v97, v15, 0x3574, v84
	v_fmamk_f16 v107, v96, 0x3574, v114
	v_fma_f16 v13, v13, 0x3b00, -v84
	v_fmac_f16_e32 v117, 0xb574, v15
	v_fma_f16 v15, v92, 0x3b00, -v114
	v_fmac_f16_e64 v131, 0xb574, v96
	v_fmamk_f16 v86, v86, 0xbcab, v8
	v_fmamk_f16 v29, v29, 0xbcab, v88
	;; [unrolled: 1-line block ×3, first 2 shown]
	v_fma_f16 v110, 0x2b26, v130, v91
	v_fma_f16 v115, v89, 0x39e0, -v115
	v_fma_f16 v89, v89, 0xb9e0, -v90
	;; [unrolled: 1-line block ×4, first 2 shown]
	v_fmac_f16_e32 v98, 0x370e, v10
	v_fmac_f16_e32 v12, 0x370e, v10
	;; [unrolled: 1-line block ×3, first 2 shown]
	v_fmamk_f16 v10, v83, 0xbcab, v9
	v_fmamk_f16 v30, v30, 0xbcab, v93
	v_fmac_f16_e32 v22, 0x370e, v36
	v_fmac_f16_e32 v97, 0x370e, v11
	;; [unrolled: 1-line block ×6, first 2 shown]
	v_fmac_f16_e64 v131, 0x370e, v23
	v_add_f16_e32 v11, v108, v86
	v_add_f16_e32 v23, v106, v29
	v_fmac_f16_e32 v14, 0x370e, v36
	v_fmac_f16_e32 v113, 0x370e, v36
	v_add_f16_e32 v36, v111, v86
	v_add_f16_e32 v35, v35, v86
	;; [unrolled: 1-line block ×10, first 2 shown]
	v_pack_b32_f16 v8, v8, v88
	v_add_f16_e32 v30, v22, v11
	v_sub_f16_e32 v88, v23, v98
	v_add_f16_e32 v89, v113, v35
	v_sub_f16_e32 v90, v20, v112
	v_sub_f16_e32 v91, v36, v14
	v_add_f16_e32 v92, v12, v29
	v_add_f16_e32 v14, v14, v36
	v_sub_f16_e32 v12, v29, v12
	v_sub_f16_e32 v29, v35, v113
	v_add_f16_e32 v20, v112, v20
	v_sub_f16_e32 v11, v11, v22
	v_add_f16_e32 v22, v98, v23
	v_pack_b32_f16 v9, v9, v93
	v_add_f16_e32 v23, v107, v83
	v_sub_f16_e32 v35, v86, v97
	v_sub_f16_e32 v36, v87, v15
	v_add_f16_e32 v15, v15, v87
	v_add_f16_e32 v87, v13, v84
	v_sub_f16_e32 v13, v84, v13
	v_add_f16_e64 v84, v131, v10
	v_sub_f16_e64 v10, v10, v131
	v_sub_f16_e32 v93, v21, v117
	v_add_f16_e32 v21, v117, v21
	v_sub_f16_e32 v83, v83, v107
	v_add_f16_e32 v86, v97, v86
	v_pack_b32_f16 v30, v30, v88
	v_pack_b32_f16 v88, v89, v90
	;; [unrolled: 1-line block ×12, first 2 shown]
	ds_store_2addr_b32 v82, v8, v30 offset1:4
	ds_store_2addr_b32 v82, v88, v89 offset0:8 offset1:12
	ds_store_2addr_b32 v82, v12, v14 offset0:16 offset1:20
	ds_store_b32 v82, v11 offset:96
	ds_store_2addr_b32 v95, v9, v20 offset1:4
	ds_store_2addr_b32 v95, v22, v23 offset0:8 offset1:12
	ds_store_2addr_b32 v95, v13, v10 offset0:16 offset1:20
	ds_store_b32 v95, v15 offset:96
	global_wb scope:SCOPE_SE
	s_wait_dscnt 0x0
	s_barrier_signal -1
	s_barrier_wait -1
	global_inv scope:SCOPE_SE
	s_clause 0x3
	global_load_b128 v[12:15], v[31:32], off offset:104
	global_load_b64 v[29:30], v[31:32], off offset:120
	global_load_b128 v[8:11], v[33:34], off offset:104
	global_load_b64 v[31:32], v[33:34], off offset:120
	v_mul_u32_u24_e32 v23, 0xc4, v19
	ds_load_2addr_b32 v[19:20], v69 offset0:68 offset1:166
	ds_load_2addr_b32 v[21:22], v44 offset0:152 offset1:250
	;; [unrolled: 1-line block ×5, first 2 shown]
	v_add_nc_u32_e32 v89, v17, v85
	v_mad_co_u64_u32 v[87:88], null, v68, 24, s[10:11]
	v_add_nc_u32_e32 v23, v23, v18
	ds_load_2addr_b32 v[17:18], v67 offset0:84 offset1:182
	ds_load_2addr_b32 v[85:86], v71 offset1:98
	v_lshl_add_u32 v96, v89, 2, v16
	global_wb scope:SCOPE_SE
	s_wait_loadcnt_dscnt 0x0
	s_barrier_signal -1
	v_lshl_add_u32 v97, v23, 2, v16
	s_barrier_wait -1
	global_inv scope:SCOPE_SE
	v_lshrrev_b32_e32 v16, 16, v19
	v_lshrrev_b32_e32 v23, 16, v21
	;; [unrolled: 1-line block ×26, first 2 shown]
	v_mul_f16_e64 v136, v19, v116
	v_mul_f16_e64 v137, v16, v116
	;; [unrolled: 1-line block ×24, first 2 shown]
	v_fma_f16 v19, v19, v12, -v137
	v_fma_f16 v20, v20, v8, -v142
	;; [unrolled: 1-line block ×12, first 2 shown]
	v_fmac_f16_e64 v136, v16, v12
	v_fmac_f16_e64 v154, v23, v30
	;; [unrolled: 1-line block ×12, first 2 shown]
	v_add_f16_e32 v16, v19, v21
	v_sub_f16_e32 v19, v19, v21
	v_add_f16_e64 v21, v136, v154
	v_sub_f16_e64 v23, v136, v154
	v_add_f16_e32 v89, v33, v17
	v_sub_f16_e32 v17, v33, v17
	v_add_f16_e64 v33, v139, v158
	v_sub_f16_e64 v90, v139, v158
	;; [unrolled: 4-line block ×4, first 2 shown]
	v_add_f16_e64 v130, v34, v18
	v_sub_f16_e32 v18, v34, v18
	v_add_f16_e64 v34, v148, v159
	v_sub_f16_e64 v131, v148, v159
	v_add_f16_e64 v132, v36, v84
	v_sub_f16_e32 v36, v84, v36
	v_sub_f16_e64 v133, v152, v150
	v_add_f16_e64 v84, v150, v152
	v_add_f16_e64 v136, v89, v16
	v_sub_f16_e64 v137, v16, v91
	v_sub_f16_e32 v16, v89, v16
	v_sub_f16_e32 v89, v91, v89
	v_add_f16_e64 v138, v33, v21
	v_sub_f16_e64 v139, v21, v83
	v_sub_f16_e32 v21, v33, v21
	v_sub_f16_e32 v33, v83, v33
	v_add_f16_e64 v140, v35, v17
	v_sub_f16_e64 v141, v35, v17
	v_sub_f16_e32 v17, v17, v19
	v_add_f16_e64 v142, v92, v90
	v_sub_f16_e64 v143, v92, v90
	v_sub_f16_e32 v90, v90, v23
	v_add_f16_e64 v146, v34, v22
	v_add_f16_e64 v148, v36, v18
	v_sub_f16_e64 v149, v36, v18
	v_sub_f16_e32 v18, v18, v20
	v_add_f16_e64 v150, v133, v131
	v_sub_f16_e64 v151, v133, v131
	v_sub_f16_e64 v131, v131, v98
	v_add_f16_e64 v144, v130, v93
	v_sub_f16_e32 v35, v19, v35
	v_sub_f16_e32 v92, v23, v92
	v_sub_f16_e64 v147, v22, v84
	v_sub_f16_e32 v22, v34, v22
	v_sub_f16_e32 v34, v84, v34
	;; [unrolled: 1-line block ×3, first 2 shown]
	v_sub_f16_e64 v133, v98, v133
	v_add_f16_e64 v91, v91, v136
	v_add_f16_e64 v83, v83, v138
	v_add_f16_e64 v19, v140, v19
	v_add_f16_e64 v23, v142, v23
	v_add_f16_e64 v84, v84, v146
	v_add_f16_e64 v20, v148, v20
	v_add_f16_e64 v98, v150, v98
	v_mul_f16_e64 v136, 0x3a52, v137
	v_mul_f16_e64 v137, 0x2b26, v89
	;; [unrolled: 1-line block ×12, first 2 shown]
	v_sub_f16_e64 v145, v93, v132
	v_sub_f16_e64 v93, v130, v93
	v_sub_f16_e64 v130, v132, v130
	v_add_f16_e64 v132, v132, v144
	v_fma_f16 v89, 0x2b26, v89, v136
	v_fma_f16 v137, v16, 0x39e0, -v137
	v_fma_f16 v16, v16, 0xb9e0, -v136
	v_fma_f16 v136, 0x3574, v35, v138
	v_fmac_f16_e64 v140, 0xb574, v35
	v_fma_f16 v35, v90, 0x3b00, -v141
	v_fma_f16 v90, 0x3574, v92, v141
	v_fmac_f16_e64 v142, 0xb574, v92
	v_fma_f16 v33, 0x2b26, v33, v139
	v_fma_f16 v92, v21, 0x39e0, -v143
	v_fma_f16 v21, v21, 0xb9e0, -v139
	v_add_f16_e32 v85, v85, v91
	v_fma_f16 v139, 0x3574, v36, v146
	v_fmac_f16_e64 v148, 0xb574, v36
	v_fma_f16 v36, v131, 0x3b00, -v149
	v_fma_f16 v131, 0x3574, v133, v149
	v_fmac_f16_e64 v150, 0xb574, v133
	v_add_f16_e64 v133, v134, v83
	v_mul_f16_e64 v144, 0x3a52, v145
	v_mul_f16_e64 v145, 0x2b26, v130
	;; [unrolled: 1-line block ×4, first 2 shown]
	v_fma_f16 v17, v17, 0x3b00, -v138
	v_add_f16_e64 v86, v86, v132
	v_add_f16_e64 v135, v135, v84
	v_fma_f16 v18, v18, 0x3b00, -v146
	v_fmamk_f16 v91, v91, 0xbcab, v85
	v_fma_f16 v83, 0xbcab, v83, v133
	v_fma_f16 v130, 0x2b26, v130, v144
	v_fma_f16 v138, v93, 0x39e0, -v145
	v_fma_f16 v93, v93, 0xb9e0, -v144
	v_fma_f16 v34, 0x2b26, v34, v147
	v_fma_f16 v134, v22, 0x39e0, -v151
	v_fma_f16 v22, v22, 0xb9e0, -v147
	v_fmac_f16_e64 v136, 0x370e, v19
	v_fmac_f16_e32 v17, 0x370e, v19
	v_fmac_f16_e64 v140, 0x370e, v19
	v_fmac_f16_e32 v90, 0x370e, v23
	v_fmac_f16_e32 v35, 0x370e, v23
	v_fmac_f16_e64 v142, 0x370e, v23
	v_fma_f16 v19, 0xbcab, v132, v86
	v_fma_f16 v23, 0xbcab, v84, v135
	v_fmac_f16_e64 v139, 0x370e, v20
	v_fmac_f16_e32 v18, 0x370e, v20
	v_fmac_f16_e64 v148, 0x370e, v20
	v_add_f16_e32 v20, v89, v91
	v_add_f16_e32 v33, v33, v83
	v_pack_b32_f16 v84, v86, v135
	v_add_f16_e64 v86, v137, v91
	v_add_f16_e32 v16, v16, v91
	v_add_f16_e32 v21, v21, v83
	;; [unrolled: 1-line block ×3, first 2 shown]
	v_fmac_f16_e64 v131, 0x370e, v98
	v_fmac_f16_e32 v36, 0x370e, v98
	v_fmac_f16_e64 v150, 0x370e, v98
	v_add_f16_e64 v89, v130, v19
	v_add_f16_e64 v91, v138, v19
	v_add_f16_e32 v19, v93, v19
	v_add_f16_e32 v34, v34, v23
	;; [unrolled: 1-line block ×3, first 2 shown]
	v_add_f16_e64 v23, v134, v23
	v_add_f16_e32 v98, v90, v20
	v_sub_f16_e32 v20, v20, v90
	v_sub_f16_e64 v90, v33, v136
	v_sub_f16_e32 v92, v86, v35
	v_add_f16_e32 v35, v35, v86
	v_add_f16_e32 v86, v17, v83
	v_sub_f16_e32 v17, v83, v17
	v_add_f16_e64 v83, v142, v16
	v_sub_f16_e64 v93, v21, v140
	v_sub_f16_e64 v16, v16, v142
	v_add_f16_e64 v21, v140, v21
	v_add_f16_e64 v33, v136, v33
	v_pack_b32_f16 v85, v85, v133
	v_sub_f16_e64 v130, v91, v36
	v_add_f16_e32 v36, v36, v91
	v_add_f16_e32 v91, v18, v23
	v_sub_f16_e32 v18, v23, v18
	v_add_f16_e64 v23, v150, v19
	v_sub_f16_e64 v19, v19, v150
	v_sub_f16_e64 v132, v22, v148
	v_add_f16_e64 v22, v148, v22
	v_add_f16_e64 v133, v131, v89
	v_sub_f16_e64 v89, v89, v131
	v_sub_f16_e64 v131, v34, v139
	v_add_f16_e64 v34, v139, v34
	v_pack_b32_f16 v90, v98, v90
	v_pack_b32_f16 v83, v83, v93
	v_pack_b32_f16 v86, v92, v86
	v_pack_b32_f16 v17, v35, v17
	v_pack_b32_f16 v16, v16, v21
	v_pack_b32_f16 v20, v20, v33
	v_pack_b32_f16 v21, v133, v131
	v_pack_b32_f16 v23, v23, v132
	v_pack_b32_f16 v33, v130, v91
	v_pack_b32_f16 v18, v36, v18
	v_pack_b32_f16 v19, v19, v22
	v_pack_b32_f16 v22, v89, v34
	ds_store_2addr_b32 v97, v85, v90 offset1:28
	ds_store_2addr_b32 v97, v83, v86 offset0:56 offset1:84
	ds_store_2addr_b32 v97, v17, v16 offset0:112 offset1:140
	ds_store_b32 v97, v20 offset:672
	ds_store_2addr_b32 v96, v84, v21 offset1:28
	ds_store_2addr_b32 v96, v23, v33 offset0:56 offset1:84
	ds_store_2addr_b32 v96, v18, v19 offset0:112 offset1:140
	ds_store_b32 v96, v22 offset:672
	global_wb scope:SCOPE_SE
	s_wait_dscnt 0x0
	s_barrier_signal -1
	s_barrier_wait -1
	global_inv scope:SCOPE_SE
	s_clause 0x3
	global_load_b128 v[16:19], v[87:88], off offset:776
	global_load_b128 v[20:23], v[87:88], off offset:3128
	global_load_b64 v[35:36], v[87:88], off offset:792
	global_load_b64 v[33:34], v[87:88], off offset:3144
	ds_load_2addr_b32 v[130:131], v69 offset0:68 offset1:166
	ds_load_2addr_b32 v[132:133], v51 offset0:136 offset1:234
	;; [unrolled: 1-line block ×6, first 2 shown]
	s_wait_dscnt 0x5
	v_lshrrev_b32_e32 v142, 16, v130
	v_lshrrev_b32_e32 v143, 16, v131
	s_wait_dscnt 0x4
	v_lshrrev_b32_e32 v145, 16, v133
	s_wait_dscnt 0x3
	v_lshrrev_b32_e32 v146, 16, v134
	v_lshrrev_b32_e32 v147, 16, v135
	s_wait_dscnt 0x2
	v_lshrrev_b32_e32 v148, 16, v136
	;; [unrolled: 5-line block ×3, first 2 shown]
	v_lshrrev_b32_e32 v144, 16, v132
	v_lshrrev_b32_e32 v149, 16, v137
	;; [unrolled: 1-line block ×3, first 2 shown]
	s_wait_loadcnt 0x3
	v_lshrrev_b32_e32 v88, 16, v16
	s_wait_loadcnt 0x2
	v_lshrrev_b32_e32 v83, 16, v20
	v_lshrrev_b32_e32 v84, 16, v21
	;; [unrolled: 1-line block ×5, first 2 shown]
	v_mul_f16_e64 v98, v142, v88
	s_wait_loadcnt 0x1
	v_lshrrev_b32_e32 v92, 16, v35
	s_wait_loadcnt 0x0
	v_lshrrev_b32_e32 v87, 16, v33
	v_lshrrev_b32_e32 v93, 16, v36
	v_mul_f16_e64 v153, v143, v83
	v_mul_f16_e64 v154, v130, v88
	v_mul_f16_e64 v157, v145, v84
	v_mul_f16_e64 v160, v146, v90
	v_mul_f16_e64 v161, v147, v85
	v_fma_f16 v130, v130, v16, -v98
	v_mul_f16_e64 v98, v148, v91
	v_lshrrev_b32_e32 v89, 16, v17
	v_mul_f16_e64 v155, v131, v83
	v_mul_f16_e64 v159, v133, v84
	;; [unrolled: 1-line block ×3, first 2 shown]
	v_fma_f16 v131, v131, v20, -v153
	v_mul_f16_e64 v153, v135, v85
	v_fma_f16 v133, v133, v21, -v157
	v_mul_f16_e64 v157, v136, v91
	v_fma_f16 v134, v134, v18, -v160
	v_fma_f16 v135, v135, v22, -v161
	v_mul_f16_e64 v160, v150, v92
	v_mul_f16_e64 v161, v151, v87
	v_fma_f16 v136, v136, v19, -v98
	v_mul_f16_e64 v98, v152, v93
	v_lshrrev_b32_e32 v86, 16, v23
	v_mul_f16_e64 v156, v144, v89
	v_mul_f16_e64 v163, v138, v92
	v_fma_f16 v138, v138, v35, -v160
	v_fma_f16 v160, v139, v33, -v161
	;; [unrolled: 1-line block ×3, first 2 shown]
	v_lshrrev_b32_e32 v98, 16, v34
	v_mul_f16_e64 v158, v132, v89
	v_fma_f16 v132, v132, v17, -v156
	v_mul_f16_e64 v156, v149, v86
	v_mul_f16_e64 v139, v139, v87
	;; [unrolled: 1-line block ×4, first 2 shown]
	v_fmac_f16_e64 v154, v142, v16
	v_fma_f16 v156, v137, v23, -v156
	v_mul_f16_e64 v137, v137, v86
	v_fma_f16 v165, v141, v34, -v165
	v_mul_f16_e64 v141, v141, v98
	v_fmac_f16_e64 v158, v144, v17
	v_fmac_f16_e64 v162, v146, v18
	;; [unrolled: 1-line block ×10, first 2 shown]
	v_add_f16_e64 v142, v130, v161
	v_add_f16_e64 v144, v132, v138
	v_sub_f16_e64 v132, v132, v138
	v_add_f16_e64 v146, v134, v136
	v_sub_f16_e64 v134, v136, v134
	v_fmac_f16_e64 v157, v148, v19
	v_sub_f16_e64 v130, v130, v161
	v_add_f16_e64 v143, v154, v140
	v_sub_f16_e64 v140, v154, v140
	v_add_f16_e64 v138, v158, v163
	;; [unrolled: 2-line block ×3, first 2 shown]
	v_add_f16_e64 v149, v133, v160
	v_add_f16_e64 v150, v135, v156
	;; [unrolled: 1-line block ×5, first 2 shown]
	v_sub_f16_e64 v133, v133, v160
	v_sub_f16_e64 v135, v156, v135
	;; [unrolled: 1-line block ×3, first 2 shown]
	v_add_f16_e64 v153, v144, v142
	v_add_f16_e64 v158, v134, v132
	;; [unrolled: 1-line block ×3, first 2 shown]
	v_sub_f16_e64 v147, v157, v162
	v_sub_f16_e64 v131, v131, v165
	;; [unrolled: 1-line block ×7, first 2 shown]
	v_add_f16_e64 v156, v138, v143
	v_sub_f16_e64 v159, v134, v132
	v_sub_f16_e64 v134, v130, v134
	;; [unrolled: 1-line block ×3, first 2 shown]
	v_add_f16_e64 v162, v149, v148
	v_add_f16_e64 v146, v146, v153
	;; [unrolled: 1-line block ×5, first 2 shown]
	v_sub_f16_e64 v157, v138, v143
	v_sub_f16_e64 v143, v143, v136
	;; [unrolled: 1-line block ×3, first 2 shown]
	v_add_f16_e64 v160, v147, v145
	v_add_f16_e64 v136, v136, v156
	v_sub_f16_e64 v156, v149, v148
	v_sub_f16_e64 v148, v148, v150
	;; [unrolled: 1-line block ×6, first 2 shown]
	v_add_f16_e64 v150, v150, v162
	v_add_f16_e64 v153, v154, v153
	;; [unrolled: 1-line block ×4, first 2 shown]
	v_mul_f16_e64 v130, 0x3a52, v142
	v_sub_f16_e64 v161, v147, v145
	v_sub_f16_e64 v147, v140, v147
	;; [unrolled: 1-line block ×3, first 2 shown]
	v_add_f16_e64 v140, v160, v140
	v_sub_f16_e64 v160, v135, v133
	v_sub_f16_e64 v135, v131, v135
	;; [unrolled: 1-line block ×6, first 2 shown]
	v_add_f16_e64 v141, v154, v141
	v_mul_f16_e64 v131, 0x2b26, v144
	v_mul_f16_e64 v142, 0x3a52, v143
	v_fma_f16 v143, 0x2b26, v144, v130
	v_fma_f16 v154, v155, 0xb9e0, -v130
	v_mul_f16_e64 v130, 0x2b26, v138
	v_fma_f16 v144, v155, 0x39e0, -v131
	v_mul_f16_e64 v131, 0xb846, v159
	v_fma_f16 v138, 0x2b26, v138, v142
	v_fma_f16 v142, v157, 0xb9e0, -v142
	v_fma_f16 v155, v157, 0x39e0, -v130
	v_mul_f16_e64 v157, 0xbb00, v132
	v_mul_f16_e64 v130, 0xb846, v161
	v_fma_f16 v132, v132, 0x3b00, -v131
	v_fma_f16 v159, 0x3574, v134, v131
	v_mul_f16_e64 v148, 0x3a52, v148
	v_fmac_f16_e64 v157, 0xb574, v134
	v_mul_f16_e64 v134, 0xbb00, v145
	v_fma_f16 v145, v145, 0x3b00, -v130
	v_fma_f16 v161, 0x3574, v147, v130
	ds_load_2addr_b32 v[130:131], v71 offset1:98
	v_mul_f16_e64 v166, 0x2b26, v149
	v_fma_f16 v149, 0x2b26, v149, v148
	v_fma_f16 v148, v156, 0xb9e0, -v148
	v_mul_f16_e64 v151, 0x3a52, v151
	v_mul_f16_e64 v160, 0xb846, v160
	v_fma_f16 v166, v156, 0x39e0, -v166
	v_mul_f16_e64 v156, 0x2b26, v152
	v_fmac_f16_e64 v134, 0xb574, v147
	v_fma_f16 v152, 0x2b26, v152, v151
	v_fma_f16 v151, v163, 0xb9e0, -v151
	v_fmac_f16_e64 v161, 0x370e, v140
	v_fma_f16 v156, v163, 0x39e0, -v156
	v_mul_f16_e64 v163, 0xbb00, v133
	v_fma_f16 v133, v133, 0x3b00, -v160
	v_fma_f16 v160, 0x3574, v135, v160
	v_fmac_f16_e64 v145, 0x370e, v140
	v_fmac_f16_e64 v134, 0x370e, v140
	;; [unrolled: 1-line block ×3, first 2 shown]
	v_mul_f16_e64 v135, 0xb846, v164
	s_wait_dscnt 0x0
	v_lshrrev_b32_e32 v147, 16, v130
	v_mul_f16_e64 v164, 0xbb00, v139
	v_lshrrev_b32_e32 v165, 16, v131
	v_add_f16_e64 v130, v130, v146
	v_fma_f16 v139, v139, 0x3b00, -v135
	v_fma_f16 v135, 0x3574, v137, v135
	v_fmac_f16_e64 v164, 0xb574, v137
	v_add_f16_e64 v137, v147, v136
	v_add_f16_e64 v131, v131, v150
	v_fma_f16 v140, 0xbcab, v146, v130
	v_fmac_f16_e64 v159, 0x370e, v158
	v_fmac_f16_e64 v135, 0x370e, v141
	v_fma_f16 v136, 0xbcab, v136, v137
	v_pack_b32_f16 v130, v130, v137
	v_add_f16_e64 v137, v165, v153
	v_fma_f16 v146, 0xbcab, v150, v131
	v_fmac_f16_e64 v139, 0x370e, v141
	v_fmac_f16_e64 v164, 0x370e, v141
	v_add_f16_e64 v141, v143, v140
	v_pack_b32_f16 v131, v131, v137
	v_fma_f16 v137, 0xbcab, v153, v137
	v_add_f16_e64 v138, v138, v136
	v_fmac_f16_e64 v132, 0x370e, v158
	v_fmac_f16_e64 v157, 0x370e, v158
	v_add_f16_e64 v143, v144, v140
	v_add_f16_e64 v140, v154, v140
	v_add_f16_e64 v144, v155, v136
	v_add_f16_e64 v136, v142, v136
	v_fmac_f16_e64 v160, 0x370e, v162
	v_fmac_f16_e64 v133, 0x370e, v162
	v_add_f16_e64 v142, v149, v146
	v_add_f16_e64 v147, v166, v146
	;; [unrolled: 1-line block ×5, first 2 shown]
	v_fmac_f16_e64 v163, 0x370e, v162
	v_add_f16_e64 v137, v151, v137
	v_add_f16_e64 v151, v161, v141
	v_sub_f16_e64 v152, v138, v159
	v_sub_f16_e64 v150, v143, v145
	v_add_f16_e64 v143, v145, v143
	v_add_f16_e64 v145, v132, v144
	v_sub_f16_e64 v132, v144, v132
	v_add_f16_e64 v144, v134, v140
	v_sub_f16_e64 v134, v140, v134
	v_sub_f16_e64 v140, v136, v157
	v_add_f16_e64 v136, v157, v136
	v_sub_f16_e64 v141, v141, v161
	v_add_f16_e64 v138, v159, v138
	;; [unrolled: 2-line block ×3, first 2 shown]
	v_add_f16_e64 v147, v133, v148
	v_add_f16_e64 v155, v135, v142
	v_sub_f16_e64 v135, v142, v135
	v_sub_f16_e64 v142, v149, v160
	;; [unrolled: 1-line block ×3, first 2 shown]
	v_add_f16_e64 v148, v164, v146
	v_sub_f16_e64 v146, v146, v164
	v_sub_f16_e64 v154, v137, v163
	v_add_f16_e64 v137, v163, v137
	v_add_f16_e64 v149, v160, v149
	v_pack_b32_f16 v151, v151, v152
	v_pack_b32_f16 v140, v144, v140
	;; [unrolled: 1-line block ×12, first 2 shown]
	ds_store_b32 v71, v151 offset:784
	ds_store_b32 v71, v140 offset:1568
	;; [unrolled: 1-line block ×6, first 2 shown]
	ds_store_2addr_b32 v71, v130, v131 offset1:98
	ds_store_b32 v71, v138 offset:1176
	ds_store_b32 v71, v141 offset:1960
	;; [unrolled: 1-line block ×6, first 2 shown]
	global_wb scope:SCOPE_SE
	s_wait_dscnt 0x0
	s_barrier_signal -1
	s_barrier_wait -1
	global_inv scope:SCOPE_SE
	global_load_b32 v142, v73, s[8:9] offset:5488
	s_add_nc_u64 s[8:9], s[8:9], 0x1570
	s_clause 0xc
	global_load_b32 v143, v73, s[8:9] offset:392
	global_load_b32 v144, v73, s[8:9] offset:3136
	;; [unrolled: 1-line block ×13, first 2 shown]
	ds_load_2addr_b32 v[130:131], v71 offset1:98
	ds_load_2addr_b32 v[132:133], v70 offset0:16 offset1:114
	ds_load_2addr_b32 v[134:135], v69 offset0:68 offset1:166
	;; [unrolled: 1-line block ×5, first 2 shown]
	s_wait_dscnt 0x5
	v_lshrrev_b32_e32 v156, 16, v130
	v_lshrrev_b32_e32 v157, 16, v131
	s_wait_dscnt 0x4
	v_lshrrev_b32_e32 v160, 16, v132
	v_lshrrev_b32_e32 v161, 16, v133
	s_wait_loadcnt 0xc
	v_lshrrev_b32_e32 v158, 16, v143
	s_delay_alu instid0(VALU_DEP_1) | instskip(SKIP_2) | instid1(VALU_DEP_2)
	v_mul_f16_e64 v162, v157, v158
	v_mul_f16_e64 v158, v131, v158
	v_lshrrev_b32_e32 v155, 16, v142
	v_fmac_f16_e64 v158, v157, v143
	s_delay_alu instid0(VALU_DEP_2) | instskip(SKIP_1) | instid1(VALU_DEP_2)
	v_mul_f16_e64 v159, v130, v155
	v_mul_f16_e64 v155, v156, v155
	v_fmac_f16_e64 v159, v156, v142
	s_wait_loadcnt 0xb
	v_lshrrev_b32_e32 v156, 16, v144
	s_delay_alu instid0(VALU_DEP_3)
	v_fma_f16 v142, v130, v142, -v155
	v_fma_f16 v155, v131, v143, -v162
	s_wait_loadcnt 0xa
	v_lshrrev_b32_e32 v131, 16, v145
	s_wait_dscnt 0x3
	v_lshrrev_b32_e32 v130, 16, v134
	v_mul_f16_e64 v162, v132, v156
	v_mul_f16_e64 v156, v160, v156
	v_lshrrev_b32_e32 v143, 16, v135
	v_mul_f16_e64 v157, v161, v131
	v_mul_f16_e64 v163, v133, v131
	v_fmac_f16_e64 v162, v160, v144
	s_wait_loadcnt 0x9
	v_lshrrev_b32_e32 v160, 16, v146
	v_fma_f16 v132, v132, v144, -v156
	v_fma_f16 v133, v133, v145, -v157
	s_wait_loadcnt 0x8
	v_lshrrev_b32_e32 v131, 16, v147
	s_wait_dscnt 0x2
	v_lshrrev_b32_e32 v144, 16, v136
	v_mul_f16_e64 v156, v134, v160
	v_mul_f16_e64 v157, v130, v160
	v_fmac_f16_e64 v163, v161, v145
	v_lshrrev_b32_e32 v145, 16, v137
	v_mul_f16_e64 v160, v143, v131
	v_fmac_f16_e64 v156, v130, v146
	s_wait_loadcnt 0x7
	v_lshrrev_b32_e32 v161, 16, v148
	v_mul_f16_e64 v164, v135, v131
	v_fma_f16 v134, v134, v146, -v157
	s_wait_loadcnt 0x6
	v_lshrrev_b32_e32 v146, 16, v149
	v_fma_f16 v135, v135, v147, -v160
	v_mul_f16_e64 v157, v136, v161
	v_fmac_f16_e64 v164, v143, v147
	v_mul_f16_e64 v143, v144, v161
	v_mul_f16_e64 v147, v145, v146
	ds_load_2addr_b32 v[130:131], v44 offset0:152 offset1:250
	v_fmac_f16_e64 v157, v144, v148
	s_wait_dscnt 0x2
	v_lshrrev_b32_e32 v144, 16, v138
	v_mul_f16_e64 v146, v137, v146
	v_fma_f16 v136, v136, v148, -v143
	s_wait_loadcnt 0x5
	v_lshrrev_b32_e32 v143, 16, v150
	v_fma_f16 v137, v137, v149, -v147
	v_lshrrev_b32_e32 v147, 16, v139
	s_wait_loadcnt 0x4
	v_lshrrev_b32_e32 v148, 16, v151
	v_fmac_f16_e64 v146, v145, v149
	v_mul_f16_e64 v145, v138, v143
	v_mul_f16_e64 v143, v144, v143
	v_pack_b32_f16 v132, v132, v162
	v_mul_f16_e64 v149, v147, v148
	v_mul_f16_e64 v148, v139, v148
	v_fmac_f16_e64 v145, v144, v150
	s_wait_dscnt 0x1
	v_lshrrev_b32_e32 v144, 16, v141
	v_fma_f16 v138, v138, v150, -v143
	s_wait_loadcnt 0x3
	v_lshrrev_b32_e32 v143, 16, v152
	v_fma_f16 v139, v139, v151, -v149
	v_lshrrev_b32_e32 v149, 16, v140
	s_wait_loadcnt 0x2
	v_lshrrev_b32_e32 v150, 16, v153
	v_fmac_f16_e64 v148, v147, v151
	v_mul_f16_e64 v147, v141, v143
	v_mul_f16_e64 v143, v144, v143
	v_pack_b32_f16 v133, v133, v163
	v_mul_f16_e64 v151, v149, v150
	v_mul_f16_e64 v150, v140, v150
	v_fmac_f16_e64 v147, v144, v152
	s_wait_dscnt 0x0
	v_lshrrev_b32_e32 v144, 16, v130
	v_fma_f16 v141, v141, v152, -v143
	s_wait_loadcnt 0x1
	v_lshrrev_b32_e32 v143, 16, v154
	v_fma_f16 v140, v140, v153, -v151
	v_lshrrev_b32_e32 v151, 16, v131
	s_wait_loadcnt 0x0
	v_lshrrev_b32_e32 v152, 16, v73
	v_fmac_f16_e64 v150, v149, v153
	v_mul_f16_e64 v149, v130, v143
	v_mul_f16_e64 v143, v144, v143
	v_pack_b32_f16 v134, v134, v156
	v_mul_f16_e64 v153, v151, v152
	v_mul_f16_e64 v152, v131, v152
	v_fmac_f16_e64 v149, v144, v154
	v_fma_f16 v130, v130, v154, -v143
	v_pack_b32_f16 v135, v135, v164
	v_fma_f16 v131, v131, v73, -v153
	v_fmac_f16_e64 v152, v151, v73
	v_pack_b32_f16 v73, v142, v159
	v_pack_b32_f16 v142, v155, v158
	;; [unrolled: 1-line block ×10, first 2 shown]
	ds_store_2addr_b32 v71, v73, v142 offset1:98
	ds_store_2addr_b32 v70, v132, v133 offset0:16 offset1:114
	ds_store_2addr_b32 v69, v134, v135 offset0:68 offset1:166
	;; [unrolled: 1-line block ×6, first 2 shown]
	global_wb scope:SCOPE_SE
	s_wait_dscnt 0x0
	s_barrier_signal -1
	s_barrier_wait -1
	global_inv scope:SCOPE_SE
	ds_load_2addr_b32 v[130:131], v71 offset1:98
	ds_load_2addr_b32 v[132:133], v72 offset0:76 offset1:174
	ds_load_2addr_b32 v[134:135], v70 offset0:16 offset1:114
	;; [unrolled: 1-line block ×6, first 2 shown]
	global_wb scope:SCOPE_SE
	s_wait_dscnt 0x0
	s_barrier_signal -1
	s_barrier_wait -1
	global_inv scope:SCOPE_SE
	v_pk_add_f16 v144, v130, v133 neg_lo:[0,1] neg_hi:[0,1]
	v_pk_add_f16 v134, v131, v134 neg_lo:[0,1] neg_hi:[0,1]
	;; [unrolled: 1-line block ×7, first 2 shown]
	v_pk_fma_f16 v143, v130, 2.0, v144 op_sel_hi:[1,0,1] neg_lo:[0,0,1] neg_hi:[0,0,1]
	v_pk_fma_f16 v133, v131, 2.0, v134 op_sel_hi:[1,0,1] neg_lo:[0,0,1] neg_hi:[0,0,1]
	;; [unrolled: 1-line block ×7, first 2 shown]
	ds_store_b64 v75, v[143:144]
	ds_store_b64 v76, v[133:134]
	;; [unrolled: 1-line block ×7, first 2 shown]
	global_wb scope:SCOPE_SE
	s_wait_dscnt 0x0
	s_barrier_signal -1
	s_barrier_wait -1
	global_inv scope:SCOPE_SE
	ds_load_2addr_b32 v[75:76], v72 offset0:76 offset1:174
	ds_load_2addr_b32 v[77:78], v71 offset1:98
	ds_load_2addr_b32 v[79:80], v70 offset0:16 offset1:114
	ds_load_2addr_b32 v[130:131], v67 offset0:84 offset1:182
	;; [unrolled: 1-line block ×5, first 2 shown]
	global_wb scope:SCOPE_SE
	s_wait_dscnt 0x0
	s_barrier_signal -1
	s_barrier_wait -1
	global_inv scope:SCOPE_SE
	v_lshrrev_b32_e32 v73, 16, v76
	v_mul_f16_e32 v81, v105, v76
	v_lshrrev_b32_e32 v139, 16, v79
	v_lshrrev_b32_e32 v140, 16, v80
	;; [unrolled: 1-line block ×6, first 2 shown]
	v_mul_f16_e64 v157, v105, v73
	v_mul_f16_e64 v141, v105, v79
	v_fma_f16 v73, v74, v73, -v81
	v_mul_f16_e64 v81, v105, v139
	v_mul_f16_e64 v142, v105, v80
	v_mul_f16_e64 v158, v105, v140
	v_mul_f16_e64 v145, v105, v130
	v_mul_f16_e64 v159, v105, v143
	v_mul_f16_e64 v146, v105, v131
	v_mul_f16_e64 v149, v105, v132
	v_mul_f16_e64 v150, v105, v133
	v_mul_f16_e64 v160, v105, v144
	v_mul_f16_e64 v161, v105, v147
	v_mul_f16_e64 v105, v105, v148
	v_lshrrev_b32_e32 v138, 16, v77
	v_fmac_f16_e64 v157, v74, v76
	v_lshrrev_b32_e32 v151, 16, v78
	v_fma_f16 v139, v74, v139, -v141
	v_fmac_f16_e32 v81, v74, v79
	v_lshrrev_b32_e32 v152, 16, v134
	v_fma_f16 v140, v74, v140, -v142
	v_fmac_f16_e64 v158, v74, v80
	v_lshrrev_b32_e32 v153, 16, v135
	v_fma_f16 v141, v74, v143, -v145
	v_fmac_f16_e64 v159, v74, v130
	v_lshrrev_b32_e32 v154, 16, v136
	v_lshrrev_b32_e32 v155, 16, v137
	;; [unrolled: 1-line block ×3, first 2 shown]
	v_fma_f16 v142, v74, v144, -v146
	v_fma_f16 v143, v74, v147, -v149
	;; [unrolled: 1-line block ×3, first 2 shown]
	v_fmac_f16_e64 v160, v74, v131
	v_fmac_f16_e64 v105, v74, v133
	v_sub_f16_e64 v73, v138, v73
	v_fmac_f16_e64 v161, v74, v132
	v_sub_f16_e64 v132, v77, v157
	v_sub_f16_e64 v74, v151, v139
	v_sub_f16_e32 v81, v78, v81
	v_sub_f16_e64 v76, v152, v140
	v_sub_f16_e64 v139, v134, v158
	;; [unrolled: 1-line block ×8, first 2 shown]
	v_sub_f16_e32 v105, v75, v105
	v_fma_f16 v133, v138, 2.0, -v73
	v_sub_f16_e64 v145, v137, v161
	v_fma_f16 v77, v77, 2.0, -v132
	v_fma_f16 v138, v151, 2.0, -v74
	;; [unrolled: 1-line block ×4, first 2 shown]
	v_pack_b32_f16 v74, v81, v74
	v_fma_f16 v81, v134, 2.0, -v139
	v_fma_f16 v142, v153, 2.0, -v79
	v_pack_b32_f16 v73, v132, v73
	v_fma_f16 v132, v135, 2.0, -v141
	v_fma_f16 v144, v154, 2.0, -v80
	;; [unrolled: 1-line block ×7, first 2 shown]
	v_pack_b32_f16 v77, v77, v133
	v_pack_b32_f16 v78, v78, v138
	;; [unrolled: 1-line block ×12, first 2 shown]
	ds_store_2addr_b32 v94, v77, v73 offset1:2
	ds_store_2addr_b32 v99, v78, v74 offset1:2
	;; [unrolled: 1-line block ×7, first 2 shown]
	global_wb scope:SCOPE_SE
	s_wait_dscnt 0x0
	s_barrier_signal -1
	s_barrier_wait -1
	global_inv scope:SCOPE_SE
	ds_load_2addr_b32 v[73:74], v69 offset0:68 offset1:166
	ds_load_2addr_b32 v[75:76], v51 offset0:136 offset1:234
	ds_load_2addr_b32 v[77:78], v72 offset0:76 offset1:174
	ds_load_2addr_b32 v[79:80], v70 offset0:16 offset1:114
	ds_load_2addr_b32 v[99:100], v67 offset0:84 offset1:182
	ds_load_2addr_b32 v[101:102], v44 offset0:152 offset1:250
	ds_load_2addr_b32 v[103:104], v71 offset1:98
	global_wb scope:SCOPE_SE
	s_wait_dscnt 0x0
	s_barrier_signal -1
	s_barrier_wait -1
	global_inv scope:SCOPE_SE
	v_lshrrev_b32_e32 v81, 16, v73
	v_mul_f16_e64 v94, v128, v73
	v_lshrrev_b32_e32 v105, 16, v75
	v_mul_f16_e64 v130, v126, v75
	v_lshrrev_b32_e32 v143, 16, v99
	v_lshrrev_b32_e32 v145, 16, v101
	v_lshrrev_b32_e32 v131, 16, v77
	v_mul_f16_e64 v132, v129, v77
	v_lshrrev_b32_e32 v133, 16, v79
	v_mul_f16_e64 v134, v127, v79
	v_lshrrev_b32_e32 v135, 16, v74
	v_lshrrev_b32_e32 v136, 16, v76
	v_mul_f16_e64 v137, v123, v74
	v_lshrrev_b32_e32 v138, 16, v78
	v_mul_f16_e64 v139, v124, v76
	;; [unrolled: 2-line block ×3, first 2 shown]
	v_mul_f16_e64 v146, v118, v101
	v_lshrrev_b32_e32 v147, 16, v100
	v_lshrrev_b32_e32 v149, 16, v102
	v_mul_f16_e64 v140, v125, v78
	v_mul_f16_e64 v142, v122, v80
	;; [unrolled: 1-line block ×5, first 2 shown]
	v_fma_f16 v81, v4, v81, -v94
	v_mul_f16_e32 v94, v126, v105
	v_mul_f16_e64 v119, v119, v143
	v_mul_f16_e64 v118, v118, v145
	v_fma_f16 v105, v5, v105, -v130
	v_mul_f16_e64 v126, v129, v131
	v_fma_f16 v129, v6, v131, -v132
	;; [unrolled: 2-line block ×3, first 2 shown]
	v_mul_f16_e64 v123, v123, v135
	v_mul_f16_e64 v124, v124, v136
	;; [unrolled: 1-line block ×3, first 2 shown]
	v_fma_f16 v131, v0, v135, -v137
	v_fma_f16 v132, v1, v136, -v139
	v_mul_f16_e64 v122, v122, v141
	v_fma_f16 v135, v25, v143, -v144
	v_fma_f16 v136, v26, v145, -v146
	v_mul_f16_e64 v121, v121, v147
	v_mul_f16_e64 v120, v120, v149
	v_fma_f16 v133, v2, v138, -v140
	v_fma_f16 v134, v3, v141, -v142
	;; [unrolled: 1-line block ×4, first 2 shown]
	v_fmac_f16_e64 v128, v4, v73
	v_fmac_f16_e32 v94, v5, v75
	v_fmac_f16_e32 v119, v25, v99
	;; [unrolled: 1-line block ×11, first 2 shown]
	v_add_f16_e64 v0, v81, v136
	v_sub_f16_e64 v1, v81, v136
	v_add_f16_e64 v2, v105, v135
	v_sub_f16_e64 v3, v105, v135
	;; [unrolled: 2-line block ×6, first 2 shown]
	v_add_f16_e64 v73, v128, v118
	v_add_f16_e32 v75, v94, v119
	v_sub_f16_e32 v76, v94, v119
	v_sub_f16_e32 v78, v127, v126
	v_add_f16_e32 v79, v2, v0
	v_sub_f16_e32 v80, v0, v4
	v_sub_f16_e32 v81, v4, v2
	;; [unrolled: 3-line block ×3, first 2 shown]
	v_sub_f16_e32 v2, v3, v1
	v_add_f16_e32 v3, v123, v120
	v_add_f16_e32 v101, v124, v121
	v_sub_f16_e64 v74, v128, v118
	v_add_f16_e32 v77, v126, v127
	v_sub_f16_e32 v100, v123, v120
	v_sub_f16_e32 v102, v124, v121
	v_add_f16_e32 v105, v125, v122
	v_sub_f16_e32 v118, v122, v125
	v_add_f16_e32 v119, v25, v6
	v_sub_f16_e32 v120, v6, v27
	v_sub_f16_e32 v121, v27, v25
	v_add_f16_e32 v122, v28, v26
	v_sub_f16_e32 v123, v28, v26
	v_sub_f16_e32 v6, v25, v6
	;; [unrolled: 1-line block ×3, first 2 shown]
	v_add_f16_e32 v26, v75, v73
	v_lshrrev_b32_e32 v151, 16, v103
	v_sub_f16_e32 v5, v1, v5
	v_add_f16_e32 v4, v4, v79
	v_add_f16_e32 v125, v78, v76
	v_sub_f16_e32 v126, v78, v76
	v_add_f16_e32 v1, v94, v1
	v_mul_f16_e32 v94, 0x3846, v99
	v_mul_f16_e32 v99, 0x3b00, v2
	v_add_f16_e32 v127, v101, v3
	v_lshrrev_b32_e32 v152, 16, v104
	v_sub_f16_e32 v28, v7, v28
	v_sub_f16_e32 v79, v73, v77
	v_sub_f16_e32 v124, v77, v75
	v_mul_f16_e32 v80, 0x3a52, v80
	v_sub_f16_e32 v73, v75, v73
	v_sub_f16_e32 v75, v76, v74
	v_mul_f16_e32 v76, 0x2b26, v81
	v_add_f16_e32 v27, v27, v119
	v_add_f16_e32 v7, v122, v7
	v_sub_f16_e32 v122, v118, v102
	v_mul_f16_e32 v123, 0x3846, v123
	v_mul_f16_e64 v130, 0x3b00, v25
	v_add_f16_e32 v26, v77, v26
	v_sub_f16_e32 v78, v74, v78
	v_sub_f16_e32 v119, v3, v105
	v_sub_f16_e64 v128, v105, v101
	v_add_f16_e64 v129, v118, v102
	v_mul_f16_e32 v120, 0x3a52, v120
	v_sub_f16_e32 v3, v101, v3
	v_sub_f16_e32 v101, v102, v100
	v_mul_f16_e32 v102, 0x2b26, v121
	v_add_f16_e64 v77, v151, v4
	v_add_f16_e32 v74, v125, v74
	v_mul_f16_e32 v125, 0x3846, v126
	v_fmamk_f16 v126, v5, 0xb574, v94
	v_fma_f16 v2, v2, 0xbb00, -v94
	v_fmac_f16_e32 v99, 0x3574, v5
	v_add_f16_e32 v94, v105, v127
	v_sub_f16_e32 v118, v100, v118
	v_mul_f16_e32 v79, 0x3a52, v79
	v_fmamk_f16 v81, v81, 0x2b26, v80
	v_fma_f16 v76, v0, 0x39e0, -v76
	v_fma_f16 v0, v0, 0xb9e0, -v80
	v_mul_f16_e32 v80, 0x3b00, v75
	v_add_f16_e64 v105, v152, v27
	v_mul_f16_e32 v122, 0x3846, v122
	v_fmamk_f16 v127, v28, 0xb574, v123
	v_fma_f16 v25, v25, 0xbb00, -v123
	v_fmac_f16_e64 v130, 0x3574, v28
	v_add_f16_e32 v103, v103, v26
	v_mul_f16_e32 v5, 0x2b26, v124
	v_mul_f16_e32 v119, 0x3a52, v119
	v_fmamk_f16 v121, v121, 0x2b26, v120
	v_fma_f16 v102, v6, 0x39e0, -v102
	v_fma_f16 v6, v6, 0xb9e0, -v120
	v_mul_f16_e64 v28, 0x2b26, v128
	v_mul_f16_e32 v120, 0x3b00, v101
	v_fmamk_f16 v4, v4, 0xbcab, v77
	v_fmac_f16_e32 v126, 0xb70e, v1
	v_fmamk_f16 v123, v78, 0xb574, v125
	v_fma_f16 v75, v75, 0xbb00, -v125
	v_fmac_f16_e32 v2, 0xb70e, v1
	v_fmac_f16_e32 v99, 0xb70e, v1
	v_add_f16_e32 v1, v104, v94
	v_add_f16_e64 v100, v129, v100
	v_fmamk_f16 v124, v124, 0x2b26, v79
	v_fmac_f16_e32 v80, 0x3574, v78
	v_fmamk_f16 v27, v27, 0xbcab, v105
	v_fmac_f16_e32 v127, 0xb70e, v7
	;; [unrolled: 2-line block ×3, first 2 shown]
	v_fmac_f16_e64 v130, 0xb70e, v7
	v_fmamk_f16 v7, v26, 0xbcab, v103
	v_fma_f16 v5, v73, 0x39e0, -v5
	v_fma_f16 v73, v73, 0xb9e0, -v79
	;; [unrolled: 1-line block ×3, first 2 shown]
	v_fma_f16 v79, 0x2b26, v128, v119
	v_fma_f16 v28, v3, 0x39e0, -v28
	v_fma_f16 v3, v3, 0xb9e0, -v119
	v_fmac_f16_e32 v120, 0x3574, v118
	v_pack_b32_f16 v26, v103, v77
	v_add_f16_e32 v77, v81, v4
	v_fmac_f16_e32 v123, 0xb70e, v74
	v_add_f16_e32 v76, v76, v4
	v_add_f16_e32 v0, v0, v4
	v_fmac_f16_e32 v75, 0xb70e, v74
	v_fmamk_f16 v4, v94, 0xbcab, v1
	v_fmac_f16_e32 v80, 0xb70e, v74
	v_add_f16_e32 v74, v121, v27
	v_fmac_f16_e32 v78, 0xb70e, v100
	v_add_f16_e32 v81, v102, v27
	v_add_f16_e32 v6, v6, v27
	;; [unrolled: 1-line block ×3, first 2 shown]
	v_fmac_f16_e32 v101, 0xb70e, v100
	v_add_f16_e32 v73, v73, v7
	v_add_f16_e32 v5, v5, v7
	v_fmac_f16_e32 v120, 0xb70e, v100
	v_sub_f16_e32 v94, v77, v123
	v_add_f16_e32 v100, v75, v76
	v_sub_f16_e32 v75, v76, v75
	v_add_f16_e32 v76, v123, v77
	v_add_f16_e32 v77, v79, v4
	;; [unrolled: 1-line block ×4, first 2 shown]
	v_sub_f16_e32 v79, v74, v78
	v_add_f16_e32 v74, v78, v74
	v_add_f16_e32 v78, v126, v27
	v_sub_f16_e32 v7, v0, v80
	v_add_f16_e32 v0, v80, v0
	v_add_f16_e32 v80, v101, v81
	v_sub_f16_e32 v81, v81, v101
	v_add_f16_e32 v101, v99, v73
	v_sub_f16_e32 v102, v5, v2
	;; [unrolled: 2-line block ×3, first 2 shown]
	v_sub_f16_e32 v27, v27, v126
	v_sub_f16_e32 v28, v6, v120
	v_add_f16_e32 v6, v120, v6
	v_add_f16_e32 v73, v127, v77
	v_add_f16_e64 v99, v130, v3
	v_sub_f16_e32 v103, v4, v25
	v_add_f16_e32 v4, v25, v4
	v_sub_f16_e64 v3, v3, v130
	v_sub_f16_e32 v25, v77, v127
	v_pack_b32_f16 v77, v78, v94
	v_pack_b32_f16 v7, v101, v7
	;; [unrolled: 1-line block ×13, first 2 shown]
	ds_store_2addr_b32 v82, v26, v77 offset1:4
	ds_store_2addr_b32 v82, v7, v78 offset0:8 offset1:12
	ds_store_2addr_b32 v82, v2, v0 offset0:16 offset1:20
	ds_store_b32 v82, v5 offset:96
	ds_store_2addr_b32 v95, v1, v27 offset1:4
	ds_store_2addr_b32 v95, v28, v73 offset0:8 offset1:12
	ds_store_2addr_b32 v95, v4, v3 offset0:16 offset1:20
	ds_store_b32 v95, v6 offset:96
	global_wb scope:SCOPE_SE
	s_wait_dscnt 0x0
	s_barrier_signal -1
	s_barrier_wait -1
	global_inv scope:SCOPE_SE
	ds_load_2addr_b32 v[0:1], v69 offset0:68 offset1:166
	ds_load_2addr_b32 v[2:3], v51 offset0:136 offset1:234
	;; [unrolled: 1-line block ×6, first 2 shown]
	ds_load_2addr_b32 v[73:74], v71 offset1:98
	global_wb scope:SCOPE_SE
	s_wait_dscnt 0x0
	s_barrier_signal -1
	s_barrier_wait -1
	global_inv scope:SCOPE_SE
	v_lshrrev_b32_e32 v75, 16, v0
	v_mul_f16_e32 v76, v116, v0
	v_lshrrev_b32_e32 v77, 16, v2
	v_mul_f16_e32 v78, v117, v2
	;; [unrolled: 2-line block ×12, first 2 shown]
	v_mul_f16_e32 v116, v116, v75
	v_fma_f16 v75, v12, v75, -v76
	v_mul_f16_e32 v76, v117, v77
	v_fma_f16 v77, v13, v77, -v78
	;; [unrolled: 2-line block ×4, first 2 shown]
	v_mul_f16_e32 v82, v110, v94
	v_mul_f16_e32 v110, v111, v99
	;; [unrolled: 1-line block ×4, first 2 shown]
	v_fma_f16 v94, v8, v94, -v95
	v_fma_f16 v95, v9, v99, -v100
	;; [unrolled: 1-line block ×4, first 2 shown]
	v_mul_f16_e32 v101, v109, v105
	v_fma_f16 v102, v29, v105, -v118
	v_mul_f16_e32 v103, v106, v119
	v_fma_f16 v104, v30, v119, -v120
	v_mul_f16_e32 v105, v108, v121
	v_fma_f16 v106, v31, v121, -v122
	v_mul_f16_e32 v107, v107, v123
	v_fma_f16 v108, v32, v123, -v124
	v_fmac_f16_e32 v116, v12, v0
	v_fmac_f16_e32 v76, v13, v2
	;; [unrolled: 1-line block ×12, first 2 shown]
	v_add_f16_e32 v0, v75, v104
	v_sub_f16_e32 v1, v75, v104
	v_add_f16_e32 v2, v77, v102
	v_sub_f16_e32 v3, v77, v102
	v_add_f16_e32 v4, v79, v81
	v_sub_f16_e32 v5, v81, v79
	v_add_f16_e32 v6, v94, v108
	v_sub_f16_e32 v7, v94, v108
	v_add_f16_e32 v8, v95, v106
	v_sub_f16_e32 v9, v95, v106
	v_sub_f16_e32 v11, v100, v99
	v_add_f16_e32 v10, v99, v100
	v_add_f16_e32 v12, v116, v103
	v_add_f16_e32 v14, v76, v101
	v_add_f16_e32 v25, v78, v80
	v_sub_f16_e32 v26, v80, v78
	v_add_f16_e32 v27, v2, v0
	v_sub_f16_e32 v28, v2, v0
	v_sub_f16_e32 v0, v0, v4
	;; [unrolled: 1-line block ×3, first 2 shown]
	v_add_f16_e32 v29, v5, v3
	v_add_f16_e32 v30, v82, v107
	v_sub_f16_e32 v31, v82, v107
	v_add_f16_e32 v32, v110, v105
	v_sub_f16_e32 v75, v110, v105
	v_sub_f16_e32 v77, v112, v111
	;; [unrolled: 1-line block ×4, first 2 shown]
	v_add_f16_e32 v79, v8, v6
	v_add_f16_e32 v81, v11, v9
	v_sub_f16_e32 v82, v11, v9
	v_sub_f16_e32 v9, v9, v7
	;; [unrolled: 1-line block ×7, first 2 shown]
	v_lshrrev_b32_e32 v125, 16, v73
	v_lshrrev_b32_e32 v126, 16, v74
	v_add_f16_e32 v76, v111, v112
	v_sub_f16_e32 v5, v1, v5
	v_sub_f16_e32 v11, v7, v11
	v_add_f16_e32 v4, v4, v27
	v_add_f16_e32 v10, v10, v79
	;; [unrolled: 1-line block ×3, first 2 shown]
	v_mul_f16_e32 v0, 0x3a52, v0
	v_mul_f16_e32 v94, 0x2b26, v2
	v_mul_f16_e32 v78, 0x3846, v78
	v_mul_f16_e32 v95, 0x3b00, v3
	v_add_f16_e32 v99, v32, v30
	v_add_f16_e32 v101, v77, v75
	v_mul_f16_e32 v82, 0x3846, v82
	v_mul_f16_e32 v104, 0x3b00, v9
	v_add_f16_e32 v1, v29, v1
	v_add_f16_e32 v7, v81, v7
	v_sub_f16_e32 v29, v14, v12
	v_sub_f16_e32 v12, v12, v25
	v_sub_f16_e32 v14, v25, v14
	v_add_f16_e32 v79, v26, v15
	v_sub_f16_e32 v81, v26, v15
	v_sub_f16_e32 v15, v15, v13
	v_mul_f16_e32 v6, 0x3a52, v6
	v_mul_f16_e32 v103, 0x2b26, v8
	v_sub_f16_e32 v102, v77, v75
	v_sub_f16_e32 v77, v31, v77
	;; [unrolled: 1-line block ×3, first 2 shown]
	v_add_f16_e32 v25, v25, v27
	v_fmamk_f16 v2, v2, 0x2b26, v0
	v_fma_f16 v27, v28, 0x39e0, -v94
	v_fma_f16 v0, v28, 0xb9e0, -v0
	;; [unrolled: 1-line block ×3, first 2 shown]
	v_fmamk_f16 v28, v5, 0xb574, v78
	v_fmac_f16_e32 v95, 0x3574, v5
	v_add_f16_e32 v5, v76, v99
	v_add_f16_e32 v31, v101, v31
	v_fma_f16 v9, v9, 0xbb00, -v82
	v_fmamk_f16 v78, v11, 0xb574, v82
	v_fmac_f16_e32 v104, 0x3574, v11
	v_add_f16_e32 v99, v125, v4
	v_add_f16_e32 v101, v126, v10
	v_sub_f16_e32 v26, v13, v26
	v_sub_f16_e32 v100, v32, v30
	;; [unrolled: 1-line block ×4, first 2 shown]
	v_add_f16_e32 v13, v79, v13
	v_fmamk_f16 v8, v8, 0x2b26, v6
	v_fma_f16 v76, v80, 0x39e0, -v103
	v_fma_f16 v6, v80, 0xb9e0, -v6
	v_mul_f16_e32 v11, 0x3a52, v12
	v_mul_f16_e32 v12, 0x2b26, v14
	;; [unrolled: 1-line block ×4, first 2 shown]
	v_fmac_f16_e32 v28, 0xb70e, v1
	v_fmac_f16_e32 v3, 0xb70e, v1
	;; [unrolled: 1-line block ×3, first 2 shown]
	v_add_f16_e32 v1, v73, v25
	v_fmamk_f16 v4, v4, 0xbcab, v99
	v_fmac_f16_e32 v78, 0xb70e, v7
	v_fmac_f16_e32 v9, 0xb70e, v7
	;; [unrolled: 1-line block ×3, first 2 shown]
	v_fmamk_f16 v7, v10, 0xbcab, v101
	v_mul_f16_e32 v30, 0x3a52, v30
	v_mul_f16_e32 v81, 0x2b26, v32
	;; [unrolled: 1-line block ×4, first 2 shown]
	v_fmamk_f16 v14, v14, 0x2b26, v11
	v_fma_f16 v12, v29, 0x39e0, -v12
	v_fma_f16 v11, v29, 0xb9e0, -v11
	v_fmamk_f16 v29, v26, 0xb574, v79
	v_fmac_f16_e32 v80, 0x3574, v26
	v_add_f16_e32 v26, v74, v5
	v_add_f16_e32 v2, v2, v4
	;; [unrolled: 1-line block ×7, first 2 shown]
	v_fmamk_f16 v7, v25, 0xbcab, v1
	v_fma_f16 v15, v15, 0xbb00, -v79
	v_fmamk_f16 v32, v32, 0x2b26, v30
	v_fma_f16 v73, v100, 0x39e0, -v81
	v_fma_f16 v30, v100, 0xb9e0, -v30
	v_fma_f16 v74, v75, 0xbb00, -v82
	v_fmamk_f16 v75, v77, 0xb574, v82
	v_fmac_f16_e32 v94, 0x3574, v77
	v_fmamk_f16 v5, v5, 0xbcab, v26
	v_fmac_f16_e32 v29, 0xb70e, v13
	v_add_f16_e32 v14, v14, v7
	v_fmac_f16_e32 v15, 0xb70e, v13
	v_fmac_f16_e32 v80, 0xb70e, v13
	v_add_f16_e32 v12, v12, v7
	v_add_f16_e32 v7, v11, v7
	v_fmac_f16_e32 v75, 0xb70e, v31
	v_fmac_f16_e32 v74, 0xb70e, v31
	;; [unrolled: 1-line block ×3, first 2 shown]
	v_pack_b32_f16 v13, v26, v101
	v_add_f16_e32 v26, v32, v5
	v_add_f16_e32 v27, v73, v5
	;; [unrolled: 1-line block ×3, first 2 shown]
	v_sub_f16_e32 v25, v2, v29
	v_add_f16_e32 v32, v28, v14
	v_add_f16_e32 v11, v15, v10
	v_sub_f16_e32 v10, v10, v15
	v_sub_f16_e32 v15, v0, v80
	;; [unrolled: 1-line block ×3, first 2 shown]
	v_add_f16_e32 v3, v3, v12
	v_add_f16_e32 v12, v95, v7
	;; [unrolled: 1-line block ×3, first 2 shown]
	v_sub_f16_e32 v7, v7, v95
	v_add_f16_e32 v2, v29, v2
	v_sub_f16_e32 v14, v14, v28
	v_sub_f16_e32 v29, v4, v75
	v_add_f16_e32 v30, v74, v8
	v_sub_f16_e32 v8, v8, v74
	v_sub_f16_e32 v31, v6, v94
	v_add_f16_e32 v6, v94, v6
	v_add_f16_e32 v4, v75, v4
	;; [unrolled: 1-line block ×3, first 2 shown]
	v_sub_f16_e32 v74, v27, v9
	v_add_f16_e32 v9, v9, v27
	v_add_f16_e32 v27, v104, v5
	v_sub_f16_e32 v5, v5, v104
	v_sub_f16_e32 v26, v26, v78
	v_pack_b32_f16 v1, v1, v99
	v_pack_b32_f16 v25, v32, v25
	v_pack_b32_f16 v12, v12, v15
	v_pack_b32_f16 v11, v73, v11
	v_pack_b32_f16 v3, v3, v10
	v_pack_b32_f16 v0, v7, v0
	v_pack_b32_f16 v2, v14, v2
	v_pack_b32_f16 v7, v28, v29
	v_pack_b32_f16 v10, v27, v31
	v_pack_b32_f16 v14, v74, v30
	v_pack_b32_f16 v8, v9, v8
	v_pack_b32_f16 v5, v5, v6
	v_pack_b32_f16 v4, v26, v4
	ds_store_2addr_b32 v97, v1, v25 offset1:28
	ds_store_2addr_b32 v97, v12, v11 offset0:56 offset1:84
	ds_store_2addr_b32 v97, v3, v0 offset0:112 offset1:140
	ds_store_b32 v97, v2 offset:672
	ds_store_2addr_b32 v96, v13, v7 offset1:28
	ds_store_2addr_b32 v96, v10, v14 offset0:56 offset1:84
	ds_store_2addr_b32 v96, v8, v5 offset0:112 offset1:140
	ds_store_b32 v96, v4 offset:672
	global_wb scope:SCOPE_SE
	s_wait_dscnt 0x0
	s_barrier_signal -1
	s_barrier_wait -1
	global_inv scope:SCOPE_SE
	ds_load_2addr_b32 v[0:1], v69 offset0:68 offset1:166
	ds_load_2addr_b32 v[4:5], v51 offset0:136 offset1:234
	;; [unrolled: 1-line block ×6, first 2 shown]
	ds_load_2addr_b32 v[25:26], v71 offset1:98
	v_mad_co_u64_u32 v[2:3], null, s6, v24, 0
	v_mad_co_u64_u32 v[6:7], null, s4, v68, 0
	s_wait_dscnt 0x6
	v_lshrrev_b32_e32 v27, 16, v0
	s_wait_dscnt 0x5
	v_lshrrev_b32_e32 v28, 16, v4
	;; [unrolled: 2-line block ×4, first 2 shown]
	v_mul_f16_e32 v31, v88, v0
	s_wait_dscnt 0x2
	v_lshrrev_b32_e32 v32, 16, v12
	s_wait_dscnt 0x1
	v_lshrrev_b32_e32 v73, 16, v14
	v_mul_f16_e32 v74, v89, v4
	v_mul_f16_e32 v75, v90, v8
	;; [unrolled: 1-line block ×4, first 2 shown]
	v_lshrrev_b32_e32 v77, 16, v1
	v_lshrrev_b32_e32 v78, 16, v5
	v_lshrrev_b32_e32 v80, 16, v9
	v_lshrrev_b32_e32 v81, 16, v11
	v_mul_f16_e32 v82, v93, v14
	v_lshrrev_b32_e32 v94, 16, v13
	v_lshrrev_b32_e32 v96, 16, v15
	v_mul_f16_e32 v95, v83, v1
	v_mul_f16_e32 v97, v84, v5
	;; [unrolled: 1-line block ×7, first 2 shown]
	v_fma_f16 v27, v16, v27, -v31
	v_mul_f16_e32 v31, v89, v28
	v_fma_f16 v28, v17, v28, -v74
	v_mul_f16_e32 v74, v90, v29
	;; [unrolled: 2-line block ×6, first 2 shown]
	v_mul_f16_e32 v83, v84, v78
	v_mul_f16_e32 v84, v85, v80
	;; [unrolled: 1-line block ×5, first 2 shown]
	v_fma_f16 v77, v20, v77, -v95
	v_fma_f16 v78, v21, v78, -v97
	;; [unrolled: 1-line block ×6, first 2 shown]
	v_fmac_f16_e32 v88, v16, v0
	v_fmac_f16_e32 v31, v17, v4
	;; [unrolled: 1-line block ×11, first 2 shown]
	v_add_f16_e32 v0, v27, v73
	v_sub_f16_e32 v1, v27, v73
	v_add_f16_e32 v4, v28, v32
	v_sub_f16_e32 v5, v28, v32
	;; [unrolled: 2-line block ×3, first 2 shown]
	v_fmac_f16_e32 v85, v23, v11
	v_add_f16_e32 v10, v77, v90
	v_sub_f16_e32 v11, v77, v90
	v_add_f16_e32 v12, v78, v87
	v_sub_f16_e32 v13, v78, v87
	;; [unrolled: 2-line block ×3, first 2 shown]
	v_add_f16_e32 v16, v88, v79
	v_add_f16_e32 v18, v31, v76
	v_sub_f16_e32 v19, v31, v76
	v_sub_f16_e32 v21, v75, v74
	v_add_f16_e32 v22, v4, v0
	v_sub_f16_e32 v23, v4, v0
	v_sub_f16_e32 v0, v0, v8
	;; [unrolled: 1-line block ×3, first 2 shown]
	v_add_f16_e32 v27, v9, v5
	v_sub_f16_e32 v28, v9, v5
	v_sub_f16_e32 v5, v5, v1
	v_add_f16_e32 v29, v82, v89
	v_add_f16_e32 v31, v83, v86
	v_sub_f16_e32 v17, v88, v79
	v_add_f16_e32 v20, v74, v75
	v_sub_f16_e32 v32, v83, v86
	;; [unrolled: 2-line block ×4, first 2 shown]
	v_sub_f16_e32 v10, v10, v14
	v_sub_f16_e32 v12, v14, v12
	v_add_f16_e32 v73, v15, v13
	v_sub_f16_e32 v74, v15, v13
	v_sub_f16_e32 v13, v13, v11
	v_add_f16_e32 v75, v18, v16
	s_wait_dscnt 0x0
	v_lshrrev_b32_e32 v103, 16, v25
	v_sub_f16_e32 v9, v1, v9
	v_sub_f16_e32 v78, v21, v19
	v_add_f16_e32 v8, v8, v22
	v_add_f16_e32 v1, v27, v1
	v_mul_f16_e32 v0, 0x3a52, v0
	v_mul_f16_e32 v22, 0x2b26, v4
	;; [unrolled: 1-line block ×4, first 2 shown]
	v_add_f16_e32 v79, v31, v29
	v_lshrrev_b32_e32 v104, 16, v26
	v_sub_f16_e32 v30, v82, v89
	v_sub_f16_e32 v15, v11, v15
	;; [unrolled: 1-line block ×5, first 2 shown]
	v_add_f16_e32 v77, v21, v19
	v_sub_f16_e32 v19, v19, v17
	v_sub_f16_e32 v80, v31, v29
	;; [unrolled: 1-line block ×3, first 2 shown]
	v_add_f16_e32 v81, v34, v32
	v_sub_f16_e32 v82, v34, v32
	v_add_f16_e32 v14, v14, v35
	v_add_f16_e32 v11, v73, v11
	v_mul_f16_e32 v10, 0x3a52, v10
	v_mul_f16_e32 v35, 0x2b26, v12
	;; [unrolled: 1-line block ×4, first 2 shown]
	v_add_f16_e32 v20, v20, v75
	v_add_f16_e32 v75, v103, v8
	v_mul_f16_e32 v78, 0x3846, v78
	v_fmamk_f16 v4, v4, 0x2b26, v0
	v_fma_f16 v22, v23, 0x39e0, -v22
	v_fma_f16 v0, v23, 0xb9e0, -v0
	v_fmamk_f16 v23, v9, 0xb574, v27
	v_fma_f16 v5, v5, 0xbb00, -v27
	v_fmac_f16_e32 v28, 0x3574, v9
	v_add_f16_e32 v9, v33, v79
	v_sub_f16_e32 v21, v17, v21
	v_sub_f16_e32 v31, v33, v31
	;; [unrolled: 1-line block ×4, first 2 shown]
	v_add_f16_e32 v17, v77, v17
	v_mul_f16_e32 v77, 0x2b26, v18
	v_mul_f16_e32 v83, 0x3b00, v19
	v_add_f16_e32 v27, v81, v30
	v_add_f16_e32 v30, v104, v14
	v_mul_f16_e32 v29, 0x3a52, v29
	v_mul_f16_e32 v79, 0x3846, v82
	v_fmamk_f16 v12, v12, 0x2b26, v10
	v_fma_f16 v35, v36, 0x39e0, -v35
	v_fma_f16 v10, v36, 0xb9e0, -v10
	v_fmamk_f16 v36, v15, 0xb574, v73
	v_fma_f16 v13, v13, 0xbb00, -v73
	v_fmac_f16_e32 v74, 0x3574, v15
	v_add_f16_e32 v15, v25, v20
	v_mul_f16_e32 v16, 0x3a52, v16
	v_fmamk_f16 v8, v8, 0xbcab, v75
	v_fma_f16 v19, v19, 0xbb00, -v78
	v_fmac_f16_e32 v23, 0xb70e, v1
	v_fmac_f16_e32 v5, 0xb70e, v1
	;; [unrolled: 1-line block ×3, first 2 shown]
	v_add_f16_e32 v1, v26, v9
	v_mul_f16_e32 v33, 0x2b26, v31
	v_mul_f16_e32 v81, 0x3b00, v32
	v_fma_f16 v25, v76, 0x39e0, -v77
	v_fmamk_f16 v73, v21, 0xb574, v78
	v_fmac_f16_e32 v83, 0x3574, v21
	v_fmamk_f16 v14, v14, 0xbcab, v30
	v_fmamk_f16 v21, v31, 0x2b26, v29
	;; [unrolled: 1-line block ×3, first 2 shown]
	v_fmac_f16_e32 v36, 0xb70e, v11
	v_fmac_f16_e32 v13, 0xb70e, v11
	;; [unrolled: 1-line block ×3, first 2 shown]
	v_fmamk_f16 v11, v20, 0xbcab, v15
	v_fmamk_f16 v18, v18, 0x2b26, v16
	v_fma_f16 v16, v76, 0xb9e0, -v16
	v_add_f16_e32 v4, v4, v8
	v_add_f16_e32 v20, v22, v8
	;; [unrolled: 1-line block ×3, first 2 shown]
	v_fmac_f16_e32 v19, 0xb70e, v17
	v_fmamk_f16 v8, v9, 0xbcab, v1
	v_fma_f16 v26, v80, 0x39e0, -v33
	v_fma_f16 v29, v80, 0xb9e0, -v29
	;; [unrolled: 1-line block ×3, first 2 shown]
	v_fmac_f16_e32 v81, 0x3574, v34
	v_fmac_f16_e32 v73, 0xb70e, v17
	v_fmac_f16_e32 v83, 0xb70e, v17
	v_add_f16_e32 v9, v12, v14
	v_fmac_f16_e32 v31, 0xb70e, v27
	v_add_f16_e32 v17, v25, v11
	v_add_f16_e32 v12, v35, v14
	v_add_f16_e32 v10, v10, v14
	v_pack_b32_f16 v14, v15, v75
	v_add_f16_e32 v15, v18, v11
	v_add_f16_e32 v11, v16, v11
	;; [unrolled: 1-line block ×3, first 2 shown]
	v_sub_f16_e32 v19, v20, v19
	v_add_f16_e32 v20, v21, v8
	v_fmac_f16_e32 v32, 0xb70e, v27
	v_fmac_f16_e32 v81, 0xb70e, v27
	v_add_f16_e32 v21, v26, v8
	v_add_f16_e32 v8, v29, v8
	v_sub_f16_e32 v25, v9, v31
	v_add_f16_e32 v9, v31, v9
	v_sub_f16_e32 v31, v17, v5
	v_add_f16_e32 v5, v5, v17
	v_pack_b32_f16 v1, v1, v30
	v_sub_f16_e32 v18, v0, v83
	v_add_f16_e32 v0, v83, v0
	v_add_f16_e32 v30, v28, v11
	v_sub_f16_e32 v11, v11, v28
	v_sub_f16_e32 v16, v4, v73
	v_add_f16_e32 v4, v73, v4
	v_add_f16_e32 v29, v23, v15
	v_sub_f16_e32 v15, v15, v23
	v_add_f16_e32 v17, v36, v20
	v_sub_f16_e32 v26, v10, v81
	;; [unrolled: 2-line block ×3, first 2 shown]
	v_add_f16_e32 v10, v81, v10
	v_add_f16_e32 v23, v74, v8
	v_sub_f16_e32 v28, v21, v13
	v_add_f16_e32 v13, v13, v21
	v_sub_f16_e32 v8, v8, v74
	v_sub_f16_e32 v20, v20, v36
	v_pack_b32_f16 v5, v5, v19
	v_pack_b32_f16 v0, v11, v0
	;; [unrolled: 1-line block ×12, first 2 shown]
	ds_store_b32 v71, v5 offset:3136
	ds_store_b32 v71, v0 offset:3920
	;; [unrolled: 1-line block ×3, first 2 shown]
	ds_store_2addr_b32 v71, v14, v1 offset1:98
	ds_store_2addr_b32 v69, v16, v11 offset0:68 offset1:166
	ds_store_2addr_b32 v51, v18, v15 offset0:136 offset1:234
	;; [unrolled: 1-line block ×3, first 2 shown]
	ds_store_b32 v71, v12 offset:3528
	ds_store_b32 v71, v8 offset:4312
	;; [unrolled: 1-line block ×3, first 2 shown]
	global_wb scope:SCOPE_SE
	s_wait_dscnt 0x0
	s_barrier_signal -1
	s_barrier_wait -1
	global_inv scope:SCOPE_SE
	ds_load_2addr_b32 v[4:5], v71 offset1:98
	ds_load_2addr_b32 v[0:1], v72 offset0:76 offset1:174
	s_wait_dscnt 0x1
	v_mad_co_u64_u32 v[8:9], null, s7, v24, v[3:4]
	v_lshrrev_b32_e32 v14, 16, v4
	v_mul_f16_e32 v15, v65, v4
	s_wait_dscnt 0x0
	v_lshrrev_b32_e32 v16, 16, v1
	v_mul_f16_e32 v17, v66, v1
	v_lshrrev_b32_e32 v18, 16, v5
	v_mul_f16_e32 v19, v64, v5
	v_mad_co_u64_u32 v[9:10], null, s5, v68, v[7:8]
	v_fma_f16 v15, v57, v14, -v15
	v_fma_f16 v17, v59, v16, -v17
	v_mul_f16_e32 v28, v65, v14
	v_fma_f16 v19, v55, v18, -v19
	v_mul_f16_e32 v29, v66, v16
	v_cvt_f32_f16_e32 v14, v15
	v_mov_b32_e32 v7, v9
	ds_load_2addr_b32 v[10:11], v70 offset0:16 offset1:114
	ds_load_2addr_b32 v[12:13], v69 offset0:68 offset1:166
	v_cvt_f32_f16_e32 v16, v17
	v_mul_f16_e32 v30, v64, v18
	v_cvt_f64_f32_e32 v[14:15], v14
	v_cvt_f32_f16_e32 v18, v19
	v_fmac_f16_e32 v28, v57, v4
	v_cvt_f64_f32_e32 v[16:17], v16
	v_fmac_f16_e32 v29, v59, v1
	v_fmac_f16_e32 v30, v55, v5
	v_cvt_f64_f32_e32 v[18:19], v18
	v_mov_b32_e32 v3, v8
	v_lshlrev_b64_e32 v[6:7], 2, v[6:7]
	v_cvt_f32_f16_e32 v1, v29
	s_delay_alu instid0(VALU_DEP_3)
	v_lshlrev_b64_e32 v[8:9], 2, v[2:3]
	ds_load_2addr_b32 v[2:3], v67 offset0:84 offset1:182
	s_wait_dscnt 0x2
	v_lshrrev_b32_e32 v20, 16, v10
	v_mul_f16_e32 v21, v63, v10
	s_wait_dscnt 0x1
	v_lshrrev_b32_e32 v22, 16, v12
	v_mul_f16_e32 v23, v61, v12
	v_lshrrev_b32_e32 v24, 16, v11
	v_mul_f16_e32 v25, v62, v11
	v_fma_f16 v21, v58, v20, -v21
	v_mul_f16_e32 v31, v63, v20
	v_fma_f16 v23, v54, v22, -v23
	;; [unrolled: 2-line block ×3, first 2 shown]
	v_cvt_f32_f16_e32 v20, v21
	v_lshrrev_b32_e32 v26, 16, v13
	v_cvt_f32_f16_e32 v22, v23
	v_mul_f16_e32 v27, v60, v13
	v_mul_f16_e32 v33, v62, v24
	v_cvt_f64_f32_e32 v[20:21], v20
	v_cvt_f32_f16_e32 v24, v25
	v_cvt_f64_f32_e32 v[22:23], v22
	v_mul_f16_e32 v34, v60, v26
	v_fma_f16 v4, v53, v26, -v27
	v_cvt_f32_f16_e32 v26, v28
	v_cvt_f64_f32_e32 v[24:25], v24
	v_fmac_f16_e32 v31, v58, v10
	v_fmac_f16_e32 v32, v54, v12
	;; [unrolled: 1-line block ×3, first 2 shown]
	v_cvt_f64_f32_e32 v[26:27], v26
	v_fmac_f16_e32 v34, v53, v13
	v_cvt_f32_f16_e32 v4, v4
	v_cvt_f64_f32_e32 v[10:11], v1
	v_cvt_f32_f16_e32 v1, v30
	v_cvt_f32_f16_e32 v5, v31
	;; [unrolled: 1-line block ×5, first 2 shown]
	v_cvt_f64_f32_e32 v[28:29], v4
	v_cvt_f64_f32_e32 v[30:31], v1
	;; [unrolled: 1-line block ×4, first 2 shown]
	v_mul_f64_e32 v[57:58], s[26:27], v[14:15]
	v_cvt_f64_f32_e32 v[55:56], v36
	v_mul_f64_e32 v[59:60], s[26:27], v[16:17]
	v_mul_f64_e32 v[61:62], s[26:27], v[18:19]
	v_cvt_f64_f32_e32 v[53:54], v13
	v_add_co_u32 v1, vcc_lo, s0, v8
	s_wait_alu 0xfffd
	v_add_co_ci_u32_e32 v5, vcc_lo, s1, v9, vcc_lo
	s_delay_alu instid0(VALU_DEP_2)
	v_add_co_u32 v4, vcc_lo, v1, v6
	s_wait_dscnt 0x0
	v_lshrrev_b32_e32 v1, 16, v2
	s_wait_alu 0xfffd
	v_add_co_ci_u32_e32 v5, vcc_lo, v5, v7, vcc_lo
	v_mul_f64_e32 v[20:21], s[26:27], v[20:21]
	v_add_co_u32 v16, vcc_lo, v4, s22
	v_mul_f64_e32 v[22:23], s[26:27], v[22:23]
	v_mul_f16_e32 v6, v52, v1
	s_wait_alu 0xfffd
	v_add_co_ci_u32_e32 v17, vcc_lo, s23, v5, vcc_lo
	v_mul_f64_e32 v[12:13], s[26:27], v[24:25]
	v_add_co_u32 v18, vcc_lo, v16, s24
	v_mul_f64_e32 v[24:25], s[26:27], v[26:27]
	v_fmac_f16_e32 v6, v49, v2
	s_wait_alu 0xfffd
	v_add_co_ci_u32_e32 v19, vcc_lo, s25, v17, vcc_lo
	v_mul_f64_e32 v[26:27], s[26:27], v[10:11]
	v_add_co_u32 v10, vcc_lo, v18, s22
	v_cvt_f32_f16_e32 v36, v6
	s_wait_alu 0xfffd
	v_add_co_ci_u32_e32 v11, vcc_lo, s23, v19, vcc_lo
	v_mul_f64_e32 v[6:7], s[26:27], v[28:29]
	v_mul_f64_e32 v[28:29], s[26:27], v[30:31]
	;; [unrolled: 1-line block ×4, first 2 shown]
	v_and_or_b32 v34, 0x1ff, v58, v57
	v_mul_f64_e32 v[8:9], s[26:27], v[55:56]
	v_and_or_b32 v55, 0x1ff, v60, v59
	v_and_or_b32 v59, 0x1ff, v62, v61
	v_mul_f64_e32 v[14:15], s[26:27], v[53:54]
	v_cmp_ne_u32_e32 vcc_lo, 0, v34
	v_lshrrev_b32_e32 v35, 8, v58
	v_bfe_u32 v53, v58, 20, 11
	v_lshrrev_b32_e32 v56, 8, v60
	v_lshrrev_b32_e32 v54, 16, v58
	s_wait_alu 0xfffd
	v_cndmask_b32_e64 v34, 0, 1, vcc_lo
	v_cmp_ne_u32_e32 vcc_lo, 0, v55
	v_bfe_u32 v57, v60, 20, 11
	v_lshrrev_b32_e32 v58, 16, v60
	v_and_or_b32 v20, 0x1ff, v21, v20
	v_and_or_b32 v34, 0xffe, v35, v34
	s_wait_alu 0xfffd
	v_cndmask_b32_e64 v55, 0, 1, vcc_lo
	v_cmp_ne_u32_e32 vcc_lo, 0, v59
	v_and_or_b32 v22, 0x1ff, v23, v22
	v_lshrrev_b32_e32 v60, 8, v62
	v_sub_nc_u32_e32 v71, 0x3f1, v53
	v_and_or_b32 v67, 0x1ff, v13, v12
	s_wait_alu 0xfffd
	v_cndmask_b32_e64 v59, 0, 1, vcc_lo
	v_cmp_ne_u32_e32 vcc_lo, 0, v20
	v_and_or_b32 v24, 0x1ff, v25, v24
	v_bfe_u32 v70, v25, 20, 11
	v_lshrrev_b32_e32 v69, 8, v25
	v_add_nc_u32_e32 v53, 0xfffffc10, v53
	s_wait_alu 0xfffd
	v_cndmask_b32_e64 v20, 0, 1, vcc_lo
	v_cmp_ne_u32_e32 vcc_lo, 0, v22
	v_and_or_b32 v26, 0x1ff, v27, v26
	v_bfe_u32 v73, v27, 20, 11
	v_sub_nc_u32_e32 v87, 0x3f1, v70
	v_and_or_b32 v35, 0xffe, v56, v55
	s_wait_alu 0xfffd
	v_cndmask_b32_e64 v22, 0, 1, vcc_lo
	v_cmp_ne_u32_e32 vcc_lo, 0, v67
	v_and_or_b32 v28, 0x1ff, v29, v28
	v_and_or_b32 v30, 0x1ff, v31, v30
	;; [unrolled: 1-line block ×3, first 2 shown]
	v_bfe_u32 v76, v29, 20, 11
	s_wait_alu 0xfffd
	v_cndmask_b32_e64 v67, 0, 1, vcc_lo
	v_cmp_ne_u32_e32 vcc_lo, 0, v24
	v_and_or_b32 v14, 0x1ff, v15, v14
	v_bfe_u32 v61, v62, 20, 11
	v_lshrrev_b32_e32 v63, 8, v21
	v_sub_nc_u32_e32 v74, 0x3f1, v57
	s_wait_alu 0xfffd
	v_cndmask_b32_e64 v24, 0, 1, vcc_lo
	v_cmp_ne_u32_e32 vcc_lo, 0, v26
	v_add_nc_u32_e32 v57, 0xfffffc10, v57
	v_sub_nc_u32_e32 v88, 0x3f1, v73
	v_sub_nc_u32_e32 v89, 0x3f1, v76
	v_and_or_b32 v55, 0xffe, v60, v59
	s_wait_alu 0xfffd
	v_cndmask_b32_e64 v26, 0, 1, vcc_lo
	v_cmp_ne_u32_e32 vcc_lo, 0, v28
	v_med3_i32 v59, v87, 0, 13
	v_and_or_b32 v24, 0xffe, v69, v24
	v_or_b32_e32 v69, 0x1000, v34
	v_lshl_or_b32 v87, v53, 12, v34
	s_wait_alu 0xfffd
	v_cndmask_b32_e64 v28, 0, 1, vcc_lo
	v_cmp_ne_u32_e32 vcc_lo, 0, v30
	v_bfe_u32 v64, v21, 20, 11
	v_lshrrev_b32_e32 v65, 8, v23
	v_lshrrev_b32_e32 v72, 8, v27
	v_sub_nc_u32_e32 v77, 0x3f1, v61
	s_wait_alu 0xfffd
	v_cndmask_b32_e64 v30, 0, 1, vcc_lo
	v_cmp_ne_u32_e32 vcc_lo, 0, v32
	v_add_nc_u32_e32 v61, 0xfffffc10, v61
	v_lshrrev_b32_e32 v81, 8, v33
	v_and_or_b32 v20, 0xffe, v63, v20
	v_med3_i32 v60, v88, 0, 13
	s_wait_alu 0xfffd
	v_cndmask_b32_e64 v32, 0, 1, vcc_lo
	v_cmp_ne_u32_e32 vcc_lo, 0, v14
	v_med3_i32 v63, v89, 0, 13
	v_or_b32_e32 v88, 0x1000, v35
	v_lshl_or_b32 v89, v57, 12, v35
	v_bfe_u32 v66, v23, 20, 11
	s_wait_alu 0xfffd
	v_cndmask_b32_e64 v14, 0, 1, vcc_lo
	v_cmp_ne_u32_e32 vcc_lo, 0, v34
	v_lshrrev_b32_e32 v75, 8, v29
	v_sub_nc_u32_e32 v80, 0x3f1, v64
	v_bfe_u32 v82, v33, 20, 11
	v_lshrrev_b32_e32 v84, 8, v15
	s_wait_alu 0xfffd
	v_cndmask_b32_e64 v34, 0, 1, vcc_lo
	v_cmp_ne_u32_e32 vcc_lo, 0, v35
	v_and_or_b32 v22, 0xffe, v65, v22
	v_and_or_b32 v26, 0xffe, v72, v26
	v_or_b32_e32 v72, 0x1000, v55
	v_and_or_b32 v32, 0xffe, v81, v32
	s_wait_alu 0xfffd
	v_cndmask_b32_e64 v35, 0, 1, vcc_lo
	v_cmp_ne_u32_e32 vcc_lo, 0, v55
	v_lshl_or_b32 v81, v61, 12, v55
	v_lshrrev_b32_e32 v68, 8, v13
	v_lshrrev_b32_e32 v78, 8, v31
	v_lshl_or_b32 v35, v35, 9, 0x7c00
	v_add_nc_u32_e32 v64, 0xfffffc10, v64
	s_wait_alu 0xfffd
	v_cndmask_b32_e64 v55, 0, 1, vcc_lo
	v_cmp_ne_u32_e32 vcc_lo, 0, v20
	v_sub_nc_u32_e32 v83, 0x3f1, v66
	v_sub_nc_u32_e32 v91, 0x3f1, v82
	v_and_or_b32 v28, 0xffe, v75, v28
	v_or_b32_e32 v75, 0x1000, v20
	v_and_or_b32 v14, 0xffe, v84, v14
	v_lshl_or_b32 v84, v64, 12, v20
	s_wait_alu 0xfffd
	v_cndmask_b32_e64 v20, 0, 1, vcc_lo
	v_cmp_ne_u32_e32 vcc_lo, 0, v22
	v_lshl_or_b32 v55, v55, 9, 0x7c00
	v_add_nc_u32_e32 v66, 0xfffffc10, v66
	v_add_nc_u32_e32 v70, 0xfffffc10, v70
	v_and_or_b32 v56, 0xffe, v68, v67
	v_med3_i32 v67, v91, 0, 13
	v_and_or_b32 v30, 0xffe, v78, v30
	v_or_b32_e32 v78, 0x1000, v22
	v_lshl_or_b32 v91, v66, 12, v22
	s_wait_alu 0xfffd
	v_cndmask_b32_e64 v22, 0, 1, vcc_lo
	v_cmp_ne_u32_e32 vcc_lo, 0, v24
	v_add_nc_u32_e32 v73, 0xfffffc10, v73
	v_or_b32_e32 v97, 0x1000, v24
	v_lshl_or_b32 v105, v70, 12, v24
	v_bfe_u32 v79, v31, 20, 11
	s_wait_alu 0xfffd
	v_cndmask_b32_e64 v24, 0, 1, vcc_lo
	v_cmp_ne_u32_e32 vcc_lo, 0, v26
	v_add_nc_u32_e32 v76, 0xfffffc10, v76
	v_or_b32_e32 v99, 0x1000, v26
	v_lshl_or_b32 v106, v73, 12, v26
	v_med3_i32 v71, v71, 0, 13
	s_wait_alu 0xfffd
	v_cndmask_b32_e64 v26, 0, 1, vcc_lo
	v_cmp_ne_u32_e32 vcc_lo, 0, v28
	v_sub_nc_u32_e32 v90, 0x3f1, v79
	v_add_nc_u32_e32 v79, 0xfffffc10, v79
	v_or_b32_e32 v100, 0x1000, v28
	v_lshl_or_b32 v107, v76, 12, v28
	s_wait_alu 0xfffd
	v_cndmask_b32_e64 v28, 0, 1, vcc_lo
	v_cmp_ne_u32_e32 vcc_lo, 0, v30
	v_bfe_u32 v85, v15, 20, 11
	v_med3_i32 v74, v74, 0, 13
	v_add_nc_u32_e32 v82, 0xfffffc10, v82
	v_lshrrev_b32_e32 v93, v71, v69
	v_or_b32_e32 v101, 0x1000, v30
	v_lshl_or_b32 v108, v79, 12, v30
	s_wait_alu 0xfffd
	v_cndmask_b32_e64 v30, 0, 1, vcc_lo
	v_cmp_ne_u32_e32 vcc_lo, 0, v32
	v_med3_i32 v77, v77, 0, 13
	v_sub_nc_u32_e32 v92, 0x3f1, v85
	v_add_nc_u32_e32 v85, 0xfffffc10, v85
	v_or_b32_e32 v102, 0x1000, v32
	v_lshrrev_b32_e32 v104, v74, v88
	v_lshl_or_b32 v109, v82, 12, v32
	s_wait_alu 0xfffd
	v_cndmask_b32_e64 v32, 0, 1, vcc_lo
	v_cmp_ne_u32_e32 vcc_lo, 0, v14
	v_lshlrev_b32_e32 v71, v71, v93
	v_bfe_u32 v12, v13, 20, 11
	v_med3_i32 v80, v80, 0, 13
	v_lshrrev_b32_e32 v94, v77, v72
	v_or_b32_e32 v103, 0x1000, v14
	v_lshl_or_b32 v110, v85, 12, v14
	s_wait_alu 0xfffd
	v_cndmask_b32_e64 v14, 0, 1, vcc_lo
	v_lshlrev_b32_e32 v74, v74, v104
	v_cmp_ne_u32_e32 vcc_lo, v71, v69
	v_sub_nc_u32_e32 v86, 0x3f1, v12
	v_med3_i32 v83, v83, 0, 13
	v_lshrrev_b32_e32 v95, v80, v75
	v_lshlrev_b32_e32 v77, v77, v94
	s_wait_alu 0xfffd
	v_cndmask_b32_e64 v69, 0, 1, vcc_lo
	v_cmp_ne_u32_e32 vcc_lo, v74, v88
	v_med3_i32 v86, v86, 0, 13
	v_med3_i32 v65, v90, 0, 13
	v_or_b32_e32 v90, 0x1000, v56
	v_lshrrev_b32_e32 v96, v83, v78
	v_lshlrev_b32_e32 v80, v80, v95
	s_wait_alu 0xfffd
	v_cndmask_b32_e64 v71, 0, 1, vcc_lo
	v_cmp_ne_u32_e32 vcc_lo, v77, v72
	v_lshrrev_b32_e32 v98, v86, v90
	v_lshlrev_b32_e32 v83, v83, v96
	v_lshrrev_b32_e32 v111, v59, v97
	v_lshrrev_b32_e32 v112, v60, v99
	s_wait_alu 0xfffd
	v_cndmask_b32_e64 v72, 0, 1, vcc_lo
	v_cmp_ne_u32_e32 vcc_lo, v80, v75
	v_lshlrev_b32_e32 v86, v86, v98
	v_lshlrev_b32_e32 v59, v59, v111
	v_lshrrev_b32_e32 v113, v63, v100
	v_lshlrev_b32_e32 v60, v60, v112
	s_wait_alu 0xfffd
	v_cndmask_b32_e64 v74, 0, 1, vcc_lo
	v_cmp_ne_u32_e32 vcc_lo, v83, v78
	v_lshrrev_b32_e32 v114, v65, v101
	v_lshlrev_b32_e32 v63, v63, v113
	v_med3_i32 v68, v92, 0, 13
	v_lshrrev_b32_e32 v115, v67, v102
	s_wait_alu 0xfffd
	v_cndmask_b32_e64 v75, 0, 1, vcc_lo
	v_cmp_ne_u32_e32 vcc_lo, v86, v90
	v_lshlrev_b32_e32 v65, v65, v114
	v_lshrrev_b32_e32 v116, v68, v103
	v_lshlrev_b32_e32 v67, v67, v115
	v_or_b32_e32 v69, v93, v69
	s_wait_alu 0xfffd
	v_cndmask_b32_e64 v77, 0, 1, vcc_lo
	v_cmp_ne_u32_e32 vcc_lo, v59, v97
	v_lshlrev_b32_e32 v68, v68, v116
	v_or_b32_e32 v71, v104, v71
	v_or_b32_e32 v72, v94, v72
	;; [unrolled: 1-line block ×3, first 2 shown]
	s_wait_alu 0xfffd
	v_cndmask_b32_e64 v59, 0, 1, vcc_lo
	v_cmp_ne_u32_e32 vcc_lo, v60, v99
	v_add_nc_u32_e32 v12, 0xfffffc10, v12
	v_or_b32_e32 v75, v96, v75
	v_or_b32_e32 v77, v98, v77
	;; [unrolled: 1-line block ×3, first 2 shown]
	s_wait_alu 0xfffd
	v_cndmask_b32_e64 v60, 0, 1, vcc_lo
	v_cmp_ne_u32_e32 vcc_lo, v63, v100
	v_lshl_or_b32 v92, v12, 12, v56
	v_lshl_or_b32 v34, v34, 9, 0x7c00
	;; [unrolled: 1-line block ×3, first 2 shown]
	v_or_b32_e32 v60, v112, v60
	s_wait_alu 0xfffd
	v_cndmask_b32_e64 v63, 0, 1, vcc_lo
	v_cmp_ne_u32_e32 vcc_lo, v65, v101
	v_lshl_or_b32 v22, v22, 9, 0x7c00
	v_lshl_or_b32 v24, v24, 9, 0x7c00
	;; [unrolled: 1-line block ×3, first 2 shown]
	v_or_b32_e32 v63, v113, v63
	s_wait_alu 0xfffd
	v_cndmask_b32_e64 v65, 0, 1, vcc_lo
	v_cmp_ne_u32_e32 vcc_lo, v67, v102
	v_lshl_or_b32 v28, v28, 9, 0x7c00
	v_lshl_or_b32 v30, v30, 9, 0x7c00
	v_lshrrev_b32_e32 v25, 16, v25
	v_or_b32_e32 v65, v114, v65
	s_wait_alu 0xfffd
	v_cndmask_b32_e64 v67, 0, 1, vcc_lo
	v_cmp_ne_u32_e32 vcc_lo, v68, v103
	v_lshrrev_b32_e32 v27, 16, v27
	v_lshrrev_b32_e32 v29, 16, v29
	;; [unrolled: 1-line block ×3, first 2 shown]
	v_or_b32_e32 v67, v115, v67
	s_wait_alu 0xfffd
	v_cndmask_b32_e64 v68, 0, 1, vcc_lo
	v_cmp_gt_i32_e32 vcc_lo, 1, v53
	v_lshrrev_b32_e32 v23, 16, v23
	v_lshrrev_b32_e32 v62, 16, v62
	v_lshrrev_b32_e32 v21, 16, v21
	v_or_b32_e32 v68, v116, v68
	s_wait_alu 0xfffd
	v_cndmask_b32_e32 v69, v87, v69, vcc_lo
	v_cmp_gt_i32_e32 vcc_lo, 1, v57
	v_lshl_or_b32 v32, v32, 9, 0x7c00
	v_and_or_b32 v8, 0x1ff, v9, v8
	v_lshl_or_b32 v14, v14, 9, 0x7c00
	s_wait_alu 0xfffd
	v_dual_cndmask_b32 v71, v89, v71 :: v_dual_and_b32 v78, 7, v69
	v_cmp_gt_i32_e32 vcc_lo, 1, v61
	v_lshrrev_b32_e32 v69, 2, v69
	v_and_or_b32 v6, 0x1ff, v7, v6
	s_delay_alu instid0(VALU_DEP_4)
	v_cmp_eq_u32_e64 s0, 3, v78
	v_and_b32_e32 v80, 7, v71
	s_wait_alu 0xfffd
	v_cndmask_b32_e32 v72, v81, v72, vcc_lo
	v_cmp_gt_i32_e32 vcc_lo, 1, v64
	v_lshrrev_b32_e32 v71, 2, v71
	v_mul_f16_e32 v2, v52, v2
	v_cmp_lt_i32_e64 s1, 5, v80
	s_wait_alu 0xfffd
	v_dual_cndmask_b32 v74, v84, v74 :: v_dual_and_b32 v81, 7, v72
	v_cmp_gt_i32_e32 vcc_lo, 1, v66
	v_cmp_eq_u32_e64 s2, 3, v80
	v_lshrrev_b32_e32 v72, 2, v72
	s_delay_alu instid0(VALU_DEP_4)
	v_cmp_lt_i32_e64 s3, 5, v81
	v_and_b32_e32 v83, 7, v74
	s_wait_alu 0xfffd
	v_cndmask_b32_e32 v75, v91, v75, vcc_lo
	v_cmp_gt_i32_e32 vcc_lo, 1, v12
	v_cmp_eq_u32_e64 s4, 3, v81
	v_lshrrev_b32_e32 v74, 2, v74
	v_cmp_lt_i32_e64 s5, 5, v83
	s_wait_alu 0xfffd
	v_dual_cndmask_b32 v77, v92, v77 :: v_dual_and_b32 v84, 7, v75
	v_cmp_gt_i32_e32 vcc_lo, 1, v70
	v_cmp_eq_u32_e64 s6, 3, v83
	v_lshrrev_b32_e32 v75, 2, v75
	s_delay_alu instid0(VALU_DEP_4)
	v_cmp_lt_i32_e64 s7, 5, v84
	v_cmp_eq_u32_e64 s8, 3, v84
	s_wait_alu 0xfffd
	v_cndmask_b32_e32 v59, v105, v59, vcc_lo
	v_cmp_gt_i32_e32 vcc_lo, 1, v73
	v_fma_f16 v1, v49, v1, -v2
	v_lshrrev_b32_e32 v33, 16, v33
	v_lshrrev_b32_e32 v13, 16, v13
	s_wait_alu 0xfffd
	v_dual_cndmask_b32 v60, v106, v60 :: v_dual_and_b32 v87, 7, v59
	v_cmp_gt_i32_e32 vcc_lo, 1, v76
	v_lshrrev_b32_e32 v59, 2, v59
	v_cvt_f32_f16_e32 v1, v1
	s_delay_alu instid0(VALU_DEP_4)
	v_cmp_lt_i32_e64 s9, 5, v87
	v_cmp_eq_u32_e64 s10, 3, v87
	s_wait_alu 0xfffd
	v_cndmask_b32_e32 v63, v107, v63, vcc_lo
	v_cmp_gt_i32_e32 vcc_lo, 1, v79
	s_wait_alu 0xfffd
	s_delay_alu instid0(VALU_DEP_2) | instskip(SKIP_2) | instid1(VALU_DEP_3)
	v_dual_cndmask_b32 v65, v108, v65 :: v_dual_and_b32 v80, 7, v63
	v_cmp_gt_i32_e32 vcc_lo, 1, v82
	v_lshrrev_b32_e32 v63, 2, v63
	v_cmp_lt_i32_e64 s13, 5, v80
	v_cmp_eq_u32_e64 s14, 3, v80
	s_wait_alu 0xfffd
	v_cndmask_b32_e32 v67, v109, v67, vcc_lo
	v_cmp_gt_i32_e32 vcc_lo, 1, v85
	v_and_b32_e32 v81, 7, v65
	v_lshrrev_b32_e32 v65, 2, v65
	s_wait_alu 0xfffd
	v_dual_cndmask_b32 v68, v110, v68 :: v_dual_and_b32 v83, 7, v67
	v_cmp_lt_i32_e32 vcc_lo, 5, v78
	v_and_b32_e32 v78, 7, v60
	v_lshrrev_b32_e32 v60, 2, v60
	v_cmp_lt_i32_e64 s15, 5, v81
	v_cmp_eq_u32_e64 s16, 3, v81
	s_or_b32 vcc_lo, s0, vcc_lo
	v_cmp_lt_i32_e64 s11, 5, v78
	s_wait_alu 0xfffe
	v_add_co_ci_u32_e32 v69, vcc_lo, 0, v69, vcc_lo
	s_or_b32 vcc_lo, s2, s1
	v_cmp_eq_u32_e64 s12, 3, v78
	s_wait_alu 0xfffe
	v_add_co_ci_u32_e32 v71, vcc_lo, 0, v71, vcc_lo
	s_or_b32 vcc_lo, s4, s3
	v_cmp_lt_i32_e64 s17, 5, v83
	s_wait_alu 0xfffe
	v_add_co_ci_u32_e32 v72, vcc_lo, 0, v72, vcc_lo
	s_or_b32 vcc_lo, s6, s5
	v_cmp_eq_u32_e64 s18, 3, v83
	s_wait_alu 0xfffe
	v_add_co_ci_u32_e32 v74, vcc_lo, 0, v74, vcc_lo
	s_or_b32 vcc_lo, s8, s7
	v_lshrrev_b32_e32 v67, 2, v67
	s_wait_alu 0xfffe
	v_add_co_ci_u32_e32 v75, vcc_lo, 0, v75, vcc_lo
	s_or_b32 vcc_lo, s10, s9
	v_and_b32_e32 v84, 7, v68
	s_wait_alu 0xfffe
	v_add_co_ci_u32_e32 v59, vcc_lo, 0, v59, vcc_lo
	v_cmp_gt_i32_e32 vcc_lo, 31, v53
	v_lshrrev_b32_e32 v68, 2, v68
	v_cmp_lt_i32_e64 s19, 5, v84
	v_cmp_eq_u32_e64 s20, 3, v84
	v_cmp_ne_u32_e64 s1, 0, v8
	s_wait_alu 0xfffd
	v_cndmask_b32_e32 v69, 0x7c00, v69, vcc_lo
	s_or_b32 vcc_lo, s12, s11
	s_wait_alu 0xfffe
	v_add_co_ci_u32_e32 v60, vcc_lo, 0, v60, vcc_lo
	v_cmp_gt_i32_e32 vcc_lo, 31, v57
	v_cndmask_b32_e64 v8, 0, 1, s1
	v_cmp_gt_i32_e64 s1, 31, v85
	s_wait_alu 0xfffd
	v_cndmask_b32_e32 v71, 0x7c00, v71, vcc_lo
	s_or_b32 vcc_lo, s14, s13
	s_wait_alu 0xfffe
	v_add_co_ci_u32_e32 v63, vcc_lo, 0, v63, vcc_lo
	v_cmp_gt_i32_e32 vcc_lo, 31, v61
	s_wait_alu 0xfffd
	v_cndmask_b32_e32 v72, 0x7c00, v72, vcc_lo
	s_or_b32 vcc_lo, s16, s15
	s_wait_alu 0xfffe
	v_add_co_ci_u32_e32 v65, vcc_lo, 0, v65, vcc_lo
	v_cmp_gt_i32_e32 vcc_lo, 31, v64
	;; [unrolled: 6-line block ×4, first 2 shown]
	s_wait_alu 0xfffd
	v_cndmask_b32_e32 v59, 0x7c00, v59, vcc_lo
	v_cmp_eq_u32_e32 vcc_lo, 0x40f, v53
	s_wait_alu 0xfffd
	v_cndmask_b32_e32 v34, v69, v34, vcc_lo
	v_cmp_gt_i32_e32 vcc_lo, 31, v73
	s_delay_alu instid0(VALU_DEP_2)
	v_and_or_b32 v34, 0x8000, v54, v34
	s_wait_alu 0xfffd
	v_cndmask_b32_e32 v53, 0x7c00, v60, vcc_lo
	v_cmp_eq_u32_e32 vcc_lo, 0x40f, v57
	s_wait_alu 0xfffd
	v_cndmask_b32_e32 v35, v71, v35, vcc_lo
	v_cmp_gt_i32_e32 vcc_lo, 31, v76
	s_delay_alu instid0(VALU_DEP_2)
	v_and_or_b32 v35, 0x8000, v58, v35
	s_wait_alu 0xfffd
	v_cndmask_b32_e32 v57, 0x7c00, v63, vcc_lo
	v_cmp_eq_u32_e32 vcc_lo, 0x40f, v61
	s_wait_alu 0xfffd
	v_cndmask_b32_e32 v55, v72, v55, vcc_lo
	v_cmp_gt_i32_e32 vcc_lo, 31, v79
	s_wait_alu 0xfffd
	v_cndmask_b32_e32 v60, 0x7c00, v65, vcc_lo
	v_cmp_eq_u32_e32 vcc_lo, 0x40f, v64
	s_wait_alu 0xfffd
	v_cndmask_b32_e32 v20, v74, v20, vcc_lo
	v_cmp_gt_i32_e32 vcc_lo, 31, v82
	v_and_b32_e32 v86, 7, v77
	s_delay_alu instid0(VALU_DEP_3)
	v_and_or_b32 v20, 0x8000, v21, v20
	s_wait_alu 0xfffd
	v_cndmask_b32_e32 v61, 0x7c00, v67, vcc_lo
	v_cmp_eq_u32_e32 vcc_lo, 0x40f, v66
	v_cmp_eq_u32_e64 s0, 3, v86
	s_wait_alu 0xfffd
	v_cndmask_b32_e32 v22, v75, v22, vcc_lo
	v_cmp_eq_u32_e32 vcc_lo, 0x40f, v70
	s_delay_alu instid0(VALU_DEP_2) | instskip(SKIP_3) | instid1(VALU_DEP_2)
	v_and_or_b32 v22, 0x8000, v23, v22
	s_wait_alu 0xfffd
	v_cndmask_b32_e32 v24, v59, v24, vcc_lo
	v_cmp_eq_u32_e32 vcc_lo, 0x40f, v73
	v_and_or_b32 v24, 0x8000, v25, v24
	s_wait_alu 0xfffd
	v_cndmask_b32_e32 v26, v53, v26, vcc_lo
	v_cmp_eq_u32_e32 vcc_lo, 0x40f, v76
	v_and_or_b32 v53, 0x8000, v62, v55
	v_and_b32_e32 v23, 0xffff, v24
	s_delay_alu instid0(VALU_DEP_4)
	v_and_or_b32 v25, 0x8000, v27, v26
	s_wait_alu 0xfffd
	v_cndmask_b32_e32 v28, v57, v28, vcc_lo
	v_cmp_eq_u32_e32 vcc_lo, 0x40f, v79
	v_lshl_or_b32 v23, v34, 16, v23
	v_and_b32_e32 v24, 0xffff, v25
	s_delay_alu instid0(VALU_DEP_4)
	v_and_or_b32 v26, 0x8000, v29, v28
	s_wait_alu 0xfffd
	v_cndmask_b32_e32 v30, v60, v30, vcc_lo
	v_cmp_eq_u32_e32 vcc_lo, 0x40f, v82
	v_lshl_or_b32 v24, v35, 16, v24
	v_and_b32_e32 v25, 0xffff, v26
	s_delay_alu instid0(VALU_DEP_4)
	v_and_or_b32 v27, 0x8000, v31, v30
	s_wait_alu 0xfffd
	v_cndmask_b32_e32 v21, v61, v32, vcc_lo
	v_cmp_lt_i32_e32 vcc_lo, 5, v86
	v_lshl_or_b32 v25, v53, 16, v25
	v_and_b32_e32 v26, 0xffff, v27
	s_delay_alu instid0(VALU_DEP_4) | instskip(SKIP_1) | instid1(VALU_DEP_2)
	v_and_or_b32 v21, 0x8000, v33, v21
	s_or_b32 vcc_lo, s0, vcc_lo
	v_lshl_or_b32 v20, v20, 16, v26
	s_clause 0x3
	global_store_b32 v[4:5], v23, off
	global_store_b32 v[16:17], v24, off
	;; [unrolled: 1-line block ×4, first 2 shown]
	v_lshrrev_b32_e32 v19, 2, v77
	v_cvt_f64_f32_e32 v[4:5], v36
	v_lshrrev_b32_e32 v16, 8, v9
	v_bfe_u32 v17, v9, 20, 11
	v_cndmask_b32_e64 v18, 0x7c00, v68, s1
	s_wait_alu 0xfffe
	v_add_co_ci_u32_e32 v19, vcc_lo, 0, v19, vcc_lo
	v_cmp_ne_u32_e32 vcc_lo, 0, v56
	v_and_or_b32 v8, 0xffe, v16, v8
	v_sub_nc_u32_e32 v16, 0x3f1, v17
	v_lshrrev_b32_e32 v25, 16, v15
	v_add_nc_u32_e32 v17, 0xfffffc10, v17
	s_wait_alu 0xfffd
	v_cndmask_b32_e64 v20, 0, 1, vcc_lo
	v_cmp_gt_i32_e32 vcc_lo, 31, v12
	v_or_b32_e32 v23, 0x1000, v8
	v_med3_i32 v16, v16, 0, 13
	v_and_b32_e32 v21, 0xffff, v21
	v_lshl_or_b32 v20, v20, 9, 0x7c00
	s_wait_alu 0xfffd
	v_cndmask_b32_e32 v19, 0x7c00, v19, vcc_lo
	v_cmp_eq_u32_e32 vcc_lo, 0x40f, v85
	v_lshrrev_b32_e32 v24, v16, v23
	v_lshl_or_b32 v21, v22, 16, v21
	s_wait_alu 0xfffd
	v_cndmask_b32_e32 v18, v18, v14, vcc_lo
	v_cmp_eq_u32_e32 vcc_lo, 0x40f, v12
	v_lshlrev_b32_e32 v14, v16, v24
	v_bfe_u32 v16, v7, 20, 11
	s_delay_alu instid0(VALU_DEP_4)
	v_and_or_b32 v18, 0x8000, v25, v18
	s_wait_alu 0xfffd
	v_cndmask_b32_e32 v12, v19, v20, vcc_lo
	v_cmp_ne_u32_e32 vcc_lo, 0, v6
	v_lshrrev_b32_e32 v6, 8, v7
	v_lshrrev_b32_e32 v7, 16, v7
	s_delay_alu instid0(VALU_DEP_4)
	v_and_or_b32 v12, 0x8000, v13, v12
	s_wait_alu 0xfffd
	v_cndmask_b32_e64 v2, 0, 1, vcc_lo
	v_cmp_ne_u32_e32 vcc_lo, v14, v23
	v_cvt_f64_f32_e32 v[14:15], v1
	v_mul_f64_e32 v[4:5], s[26:27], v[4:5]
	v_and_b32_e32 v13, 0xffff, v18
	v_and_or_b32 v6, 0xffe, v6, v2
	v_sub_nc_u32_e32 v2, 0x3f1, v16
	s_wait_alu 0xfffd
	v_cndmask_b32_e64 v19, 0, 1, vcc_lo
	v_cmp_gt_i32_e32 vcc_lo, 1, v17
	v_or_b32_e32 v20, 0x1000, v6
	v_med3_i32 v23, v2, 0, 13
	ds_load_2addr_b32 v[1:2], v51 offset0:136 offset1:234
	v_or_b32_e32 v19, v24, v19
	v_lshl_or_b32 v24, v17, 12, v8
	v_lshrrev_b32_e32 v25, v23, v20
	s_wait_alu 0xfffd
	s_delay_alu instid0(VALU_DEP_2) | instskip(SKIP_1) | instid1(VALU_DEP_3)
	v_cndmask_b32_e32 v19, v24, v19, vcc_lo
	v_add_co_u32 v10, vcc_lo, v10, s24
	v_lshlrev_b32_e32 v18, v23, v25
	s_wait_alu 0xfffd
	v_add_co_ci_u32_e32 v11, vcc_lo, s25, v11, vcc_lo
	v_and_b32_e32 v22, 7, v19
	v_lshl_or_b32 v23, v12, 16, v13
	v_lshrrev_b32_e32 v12, 2, v19
	v_cmp_ne_u32_e64 s1, v18, v20
	v_add_nc_u32_e32 v18, 0xfffffc10, v16
	v_cmp_lt_i32_e32 vcc_lo, 5, v22
	v_cmp_eq_u32_e64 s0, 3, v22
	s_wait_dscnt 0x0
	v_lshrrev_b32_e32 v22, 16, v1
	s_wait_alu 0xf1ff
	v_cndmask_b32_e64 v13, 0, 1, s1
	v_lshl_or_b32 v24, v18, 12, v6
	global_store_b32 v[10:11], v21, off
	s_or_b32 vcc_lo, s0, vcc_lo
	v_mul_f16_e32 v16, v50, v22
	s_wait_alu 0xfffe
	v_add_co_ci_u32_e32 v19, vcc_lo, 0, v12, vcc_lo
	v_cmp_ne_u32_e32 vcc_lo, 0, v8
	v_or_b32_e32 v20, v25, v13
	v_fmac_f16_e32 v16, v47, v1
	v_mul_f64_e32 v[12:13], s[26:27], v[14:15]
	v_and_or_b32 v4, 0x1ff, v5, v4
	s_wait_alu 0xfffd
	v_cndmask_b32_e64 v8, 0, 1, vcc_lo
	v_cmp_gt_i32_e32 vcc_lo, 1, v18
	v_cvt_f32_f16_e32 v14, v16
	v_mul_f16_e32 v1, v50, v1
	v_bfe_u32 v25, v5, 20, 11
	v_lshl_or_b32 v8, v8, 9, 0x7c00
	s_wait_alu 0xfffd
	v_cndmask_b32_e32 v16, v24, v20, vcc_lo
	v_cmp_gt_i32_e32 vcc_lo, 31, v17
	v_cvt_f64_f32_e32 v[14:15], v14
	v_lshrrev_b32_e32 v24, 8, v5
	v_fma_f16 v1, v47, v22, -v1
	s_wait_alu 0xfffd
	v_dual_cndmask_b32 v19, 0x7c00, v19 :: v_dual_and_b32 v20, 7, v16
	v_cmp_ne_u32_e32 vcc_lo, 0, v4
	v_lshrrev_b32_e32 v16, 2, v16
	v_cvt_f32_f16_e32 v1, v1
	s_delay_alu instid0(VALU_DEP_4) | instskip(SKIP_4) | instid1(VALU_DEP_2)
	v_cmp_eq_u32_e64 s0, 3, v20
	v_lshrrev_b32_e32 v5, 16, v5
	s_wait_alu 0xfffd
	v_cndmask_b32_e64 v4, 0, 1, vcc_lo
	v_cmp_eq_u32_e32 vcc_lo, 0x40f, v17
	v_and_or_b32 v4, 0xffe, v24, v4
	s_wait_alu 0xfffd
	v_cndmask_b32_e32 v19, v19, v8, vcc_lo
	v_cmp_lt_i32_e32 vcc_lo, 5, v20
	v_sub_nc_u32_e32 v8, 0x3f1, v25
	v_lshrrev_b32_e32 v24, 16, v9
	v_or_b32_e32 v20, 0x1000, v4
	s_or_b32 vcc_lo, s0, vcc_lo
	s_delay_alu instid0(VALU_DEP_3)
	v_med3_i32 v17, v8, 0, 13
	s_wait_alu 0xfffe
	v_add_co_ci_u32_e32 v16, vcc_lo, 0, v16, vcc_lo
	v_cmp_ne_u32_e32 vcc_lo, 0, v6
	v_cvt_f64_f32_e32 v[8:9], v1
	v_lshrrev_b32_e32 v22, v17, v20
	v_and_or_b32 v12, 0x1ff, v13, v12
	v_and_or_b32 v19, 0x8000, v24, v19
	s_wait_alu 0xfffd
	v_cndmask_b32_e64 v6, 0, 1, vcc_lo
	v_cmp_gt_i32_e32 vcc_lo, 31, v18
	v_lshlrev_b32_e32 v26, v17, v22
	v_add_nc_u32_e32 v24, 0xfffffc10, v25
	s_delay_alu instid0(VALU_DEP_4)
	v_lshl_or_b32 v6, v6, 9, 0x7c00
	s_wait_alu 0xfffd
	v_cndmask_b32_e32 v1, 0x7c00, v16, vcc_lo
	v_add_co_u32 v16, vcc_lo, v10, s22
	s_wait_alu 0xfffd
	v_add_co_ci_u32_e32 v17, vcc_lo, s23, v11, vcc_lo
	v_cmp_eq_u32_e32 vcc_lo, 0x40f, v18
	v_mul_f64_e32 v[14:15], s[26:27], v[14:15]
	v_bfe_u32 v18, v13, 20, 11
	global_store_b32 v[16:17], v23, off
	s_wait_alu 0xfffd
	v_cndmask_b32_e32 v1, v1, v6, vcc_lo
	v_cmp_ne_u32_e32 vcc_lo, 0, v12
	v_lshrrev_b32_e32 v12, 8, v13
	s_delay_alu instid0(VALU_DEP_3) | instskip(SKIP_4) | instid1(VALU_DEP_3)
	v_and_or_b32 v1, 0x8000, v7, v1
	s_wait_alu 0xfffd
	v_cndmask_b32_e64 v6, 0, 1, vcc_lo
	v_cmp_ne_u32_e32 vcc_lo, v26, v20
	v_and_b32_e32 v7, 0xffff, v19
	v_and_or_b32 v12, 0xffe, v12, v6
	v_sub_nc_u32_e32 v6, 0x3f1, v18
	s_wait_alu 0xfffd
	v_cndmask_b32_e64 v20, 0, 1, vcc_lo
	v_cmp_gt_i32_e32 vcc_lo, 1, v24
	v_lshl_or_b32 v1, v1, 16, v7
	v_or_b32_e32 v25, 0x1000, v12
	v_med3_i32 v6, v6, 0, 13
	v_or_b32_e32 v20, v22, v20
	v_lshl_or_b32 v22, v24, 12, v4
	s_delay_alu instid0(VALU_DEP_3) | instskip(SKIP_1) | instid1(VALU_DEP_2)
	v_lshrrev_b32_e32 v10, v6, v25
	s_wait_alu 0xfffd
	v_cndmask_b32_e32 v19, v22, v20, vcc_lo
	v_lshrrev_b32_e32 v20, 16, v3
	s_delay_alu instid0(VALU_DEP_3) | instskip(SKIP_1) | instid1(VALU_DEP_4)
	v_lshlrev_b32_e32 v21, v6, v10
	v_mul_f64_e32 v[6:7], s[26:27], v[8:9]
	v_and_b32_e32 v11, 7, v19
	s_delay_alu instid0(VALU_DEP_4)
	v_mul_f16_e32 v22, v48, v20
	v_add_co_u32 v8, vcc_lo, v16, s24
	v_cmp_ne_u32_e64 s1, v21, v25
	s_wait_alu 0xfffd
	v_add_co_ci_u32_e32 v9, vcc_lo, s25, v17, vcc_lo
	v_fmac_f16_e32 v22, v45, v3
	v_cmp_lt_i32_e32 vcc_lo, 5, v11
	v_cmp_eq_u32_e64 s0, 3, v11
	v_and_or_b32 v14, 0x1ff, v15, v14
	v_add_nc_u32_e32 v16, 0xfffffc10, v18
	v_lshrrev_b32_e32 v18, 2, v19
	s_wait_alu 0xf1ff
	v_cndmask_b32_e64 v11, 0, 1, s1
	v_cvt_f32_f16_e32 v17, v22
	s_or_b32 vcc_lo, s0, vcc_lo
	v_cmp_ne_u32_e64 s1, 0, v14
	s_wait_alu 0xfffe
	v_add_co_ci_u32_e32 v18, vcc_lo, 0, v18, vcc_lo
	v_or_b32_e32 v19, v10, v11
	v_lshl_or_b32 v21, v16, 12, v12
	v_cvt_f64_f32_e32 v[10:11], v17
	v_cmp_gt_i32_e32 vcc_lo, 1, v16
	s_wait_alu 0xf1ff
	v_cndmask_b32_e64 v14, 0, 1, s1
	v_lshrrev_b32_e32 v17, 8, v15
	v_bfe_u32 v22, v15, 20, 11
	v_mul_f16_e32 v3, v48, v3
	s_wait_alu 0xfffd
	v_cndmask_b32_e32 v19, v21, v19, vcc_lo
	v_cmp_ne_u32_e32 vcc_lo, 0, v4
	v_and_or_b32 v14, 0xffe, v17, v14
	v_sub_nc_u32_e32 v17, 0x3f1, v22
	v_fma_f16 v3, v45, v20, -v3
	v_and_b32_e32 v21, 7, v19
	s_wait_alu 0xfffd
	v_cndmask_b32_e64 v4, 0, 1, vcc_lo
	v_cmp_gt_i32_e32 vcc_lo, 31, v24
	v_or_b32_e32 v23, 0x1000, v14
	v_med3_i32 v17, v17, 0, 13
	v_cmp_eq_u32_e64 s0, 3, v21
	v_lshl_or_b32 v25, v4, 9, 0x7c00
	s_wait_alu 0xfffd
	v_cndmask_b32_e32 v18, 0x7c00, v18, vcc_lo
	v_cmp_lt_i32_e32 vcc_lo, 5, v21
	v_and_or_b32 v4, 0x1ff, v7, v6
	v_lshrrev_b32_e32 v6, 2, v19
	v_lshrrev_b32_e32 v26, v17, v23
	v_cvt_f32_f16_e32 v3, v3
	s_or_b32 vcc_lo, s0, vcc_lo
	v_lshrrev_b32_e32 v20, 8, v7
	s_wait_alu 0xfffe
	v_add_co_ci_u32_e32 v6, vcc_lo, 0, v6, vcc_lo
	v_lshlrev_b32_e32 v17, v17, v26
	v_cmp_ne_u32_e32 vcc_lo, 0, v4
	v_bfe_u32 v21, v7, 20, 11
	v_cvt_f64_f32_e32 v[3:4], v3
	v_add_nc_u32_e32 v22, 0xfffffc10, v22
	global_store_b32 v[8:9], v1, off
	s_wait_alu 0xfffd
	v_cndmask_b32_e64 v19, 0, 1, vcc_lo
	v_cmp_ne_u32_e32 vcc_lo, v17, v23
	v_lshrrev_b32_e32 v15, 16, v15
	v_cmp_eq_u32_e64 s1, 0x40f, v22
	v_mul_f64_e32 v[10:11], s[26:27], v[10:11]
	v_and_or_b32 v19, 0xffe, v20, v19
	s_wait_alu 0xfffd
	v_cndmask_b32_e64 v17, 0, 1, vcc_lo
	v_cmp_ne_u32_e32 vcc_lo, 0, v12
	v_sub_nc_u32_e32 v20, 0x3f1, v21
	v_lshrrev_b32_e32 v7, 16, v7
	v_or_b32_e32 v23, 0x1000, v19
	v_or_b32_e32 v17, v26, v17
	s_wait_alu 0xfffd
	v_cndmask_b32_e64 v12, 0, 1, vcc_lo
	v_cmp_gt_i32_e32 vcc_lo, 31, v16
	v_med3_i32 v20, v20, 0, 13
	v_lshl_or_b32 v26, v22, 12, v14
	s_delay_alu instid0(VALU_DEP_4)
	v_lshl_or_b32 v12, v12, 9, 0x7c00
	s_wait_alu 0xfffd
	v_cndmask_b32_e32 v6, 0x7c00, v6, vcc_lo
	v_cmp_eq_u32_e32 vcc_lo, 0x40f, v24
	v_lshrrev_b32_e32 v27, v20, v23
	s_wait_alu 0xfffd
	v_cndmask_b32_e32 v18, v18, v25, vcc_lo
	v_cmp_gt_i32_e32 vcc_lo, 1, v22
	s_delay_alu instid0(VALU_DEP_2)
	v_and_or_b32 v1, 0x8000, v5, v18
	s_wait_alu 0xfffd
	v_cndmask_b32_e32 v17, v26, v17, vcc_lo
	v_cmp_eq_u32_e32 vcc_lo, 0x40f, v16
	v_lshlrev_b32_e32 v16, v20, v27
	v_and_b32_e32 v18, 0xffff, v1
	s_delay_alu instid0(VALU_DEP_4)
	v_lshrrev_b32_e32 v1, 2, v17
	s_wait_alu 0xfffd
	v_cndmask_b32_e32 v6, v6, v12, vcc_lo
	v_lshrrev_b32_e32 v12, 16, v13
	v_and_b32_e32 v13, 7, v17
	v_cmp_ne_u32_e64 s0, v16, v23
	v_add_nc_u32_e32 v16, 0xfffffc10, v21
	s_delay_alu instid0(VALU_DEP_4) | instskip(NEXT) | instid1(VALU_DEP_4)
	v_and_or_b32 v6, 0x8000, v12, v6
	v_cmp_lt_i32_e32 vcc_lo, 5, v13
	s_wait_alu 0xf1ff
	v_cndmask_b32_e64 v5, 0, 1, s0
	v_cmp_eq_u32_e64 s0, 3, v13
	v_lshl_or_b32 v13, v16, 12, v19
	v_and_or_b32 v10, 0x1ff, v11, v10
	v_bfe_u32 v21, v11, 20, 11
	v_or_b32_e32 v12, v27, v5
	s_or_b32 vcc_lo, s0, vcc_lo
	v_mul_f64_e32 v[4:5], s[26:27], v[3:4]
	s_wait_alu 0xfffe
	v_add_co_ci_u32_e32 v1, vcc_lo, 0, v1, vcc_lo
	v_cmp_ne_u32_e32 vcc_lo, 0, v14
	v_lshrrev_b32_e32 v3, 16, v2
	v_lshl_or_b32 v18, v6, 16, v18
	s_wait_alu 0xfffd
	v_cndmask_b32_e64 v14, 0, 1, vcc_lo
	v_cmp_gt_i32_e32 vcc_lo, 1, v16
	v_mul_f16_e32 v17, v46, v3
	s_delay_alu instid0(VALU_DEP_3)
	v_lshl_or_b32 v14, v14, 9, 0x7c00
	s_wait_alu 0xfffd
	v_cndmask_b32_e32 v20, v13, v12, vcc_lo
	v_cmp_ne_u32_e32 vcc_lo, 0, v10
	v_fmac_f16_e32 v17, v42, v2
	v_lshrrev_b32_e32 v12, 8, v11
	v_mul_f16_e32 v2, v46, v2
	v_and_b32_e32 v23, 7, v20
	s_wait_alu 0xfffd
	v_cndmask_b32_e64 v10, 0, 1, vcc_lo
	v_cmp_gt_i32_e32 vcc_lo, 31, v22
	v_cvt_f32_f16_e32 v13, v17
	v_sub_nc_u32_e32 v17, 0x3f1, v21
	v_cmp_eq_u32_e64 s0, 3, v23
	v_and_or_b32 v10, 0xffe, v12, v10
	s_wait_alu 0xfffd
	v_cndmask_b32_e32 v1, 0x7c00, v1, vcc_lo
	v_cmp_lt_i32_e32 vcc_lo, 5, v23
	v_cvt_f64_f32_e32 v[12:13], v13
	v_lshrrev_b32_e32 v20, 2, v20
	v_or_b32_e32 v24, 0x1000, v10
	v_med3_i32 v17, v17, 0, 13
	s_or_b32 vcc_lo, s0, vcc_lo
	v_cndmask_b32_e64 v14, v1, v14, s1
	s_wait_alu 0xfffe
	v_add_co_ci_u32_e32 v1, vcc_lo, 0, v20, vcc_lo
	v_lshrrev_b32_e32 v22, v17, v24
	v_cmp_ne_u32_e32 vcc_lo, 0, v19
	v_fma_f16 v2, v42, v3, -v2
	v_and_or_b32 v4, 0x1ff, v5, v4
	v_bfe_u32 v25, v5, 20, 11
	v_lshlrev_b32_e32 v17, v17, v22
	s_wait_alu 0xfffd
	v_cndmask_b32_e64 v19, 0, 1, vcc_lo
	v_cmp_gt_i32_e32 vcc_lo, 31, v16
	v_add_nc_u32_e32 v21, 0xfffffc10, v21
	v_and_or_b32 v14, 0x8000, v15, v14
	s_delay_alu instid0(VALU_DEP_4)
	v_lshl_or_b32 v19, v19, 9, 0x7c00
	s_wait_alu 0xfffd
	v_cndmask_b32_e32 v20, 0x7c00, v1, vcc_lo
	v_cmp_ne_u32_e32 vcc_lo, v17, v24
	v_cvt_f32_f16_e32 v1, v2
	v_lshrrev_b32_e32 v24, 8, v5
	v_and_b32_e32 v14, 0xffff, v14
	v_lshrrev_b32_e32 v5, 16, v5
	s_wait_alu 0xfffd
	v_cndmask_b32_e64 v17, 0, 1, vcc_lo
	v_cmp_ne_u32_e32 vcc_lo, 0, v4
	v_cvt_f64_f32_e32 v[3:4], v1
	ds_load_2addr_b32 v[1:2], v44 offset0:152 offset1:250
	v_or_b32_e32 v17, v22, v17
	s_wait_alu 0xfffd
	v_cndmask_b32_e64 v23, 0, 1, vcc_lo
	v_cmp_eq_u32_e32 vcc_lo, 0x40f, v16
	s_delay_alu instid0(VALU_DEP_2)
	v_and_or_b32 v23, 0xffe, v24, v23
	v_sub_nc_u32_e32 v24, 0x3f1, v25
	s_wait_alu 0xfffd
	v_cndmask_b32_e32 v16, v20, v19, vcc_lo
	v_lshl_or_b32 v19, v21, 12, v10
	v_cmp_gt_i32_e32 vcc_lo, 1, v21
	v_or_b32_e32 v20, 0x1000, v23
	v_med3_i32 v22, v24, 0, 13
	v_mul_f64_e32 v[12:13], s[26:27], v[12:13]
	v_and_or_b32 v16, 0x8000, v7, v16
	s_wait_alu 0xfffd
	v_cndmask_b32_e32 v15, v19, v17, vcc_lo
	v_add_co_u32 v6, vcc_lo, v8, s22
	v_lshrrev_b32_e32 v17, v22, v20
	s_wait_dscnt 0x0
	v_lshrrev_b32_e32 v24, 16, v1
	v_and_b32_e32 v19, 7, v15
	s_wait_alu 0xfffd
	v_add_co_ci_u32_e32 v7, vcc_lo, s23, v9, vcc_lo
	v_lshlrev_b32_e32 v22, v22, v17
	v_lshrrev_b32_e32 v8, 2, v15
	v_cmp_lt_i32_e32 vcc_lo, 5, v19
	v_cmp_eq_u32_e64 s0, 3, v19
	v_mul_f16_e32 v19, v43, v24
	v_cmp_ne_u32_e64 s1, v22, v20
	v_add_nc_u32_e32 v20, 0xfffffc10, v25
	v_lshl_or_b32 v16, v16, 16, v14
	s_or_b32 vcc_lo, s0, vcc_lo
	v_fmac_f16_e32 v19, v41, v1
	v_cndmask_b32_e64 v9, 0, 1, s1
	s_wait_alu 0xfffe
	v_add_co_ci_u32_e32 v22, vcc_lo, 0, v8, vcc_lo
	v_cmp_ne_u32_e32 vcc_lo, 0, v10
	v_cmp_eq_u32_e64 s1, 0x40f, v21
	v_or_b32_e32 v17, v17, v9
	v_mul_f64_e32 v[8:9], s[26:27], v[3:4]
	v_cvt_f32_f16_e32 v3, v19
	v_lshl_or_b32 v4, v20, 12, v23
	s_wait_alu 0xfffd
	v_cndmask_b32_e64 v10, 0, 1, vcc_lo
	v_cmp_gt_i32_e32 vcc_lo, 1, v20
	v_mul_f16_e32 v1, v43, v1
	v_cvt_f64_f32_e32 v[14:15], v3
	s_delay_alu instid0(VALU_DEP_4)
	v_lshl_or_b32 v10, v10, 9, 0x7c00
	s_wait_alu 0xfffd
	v_cndmask_b32_e32 v17, v4, v17, vcc_lo
	v_cmp_gt_i32_e32 vcc_lo, 31, v21
	v_fma_f16 v1, v41, v24, -v1
	v_and_or_b32 v12, 0x1ff, v13, v12
	v_lshrrev_b32_e32 v25, 8, v13
	v_bfe_u32 v26, v13, 20, 11
	s_wait_alu 0xfffd
	v_dual_cndmask_b32 v19, 0x7c00, v22 :: v_dual_and_b32 v22, 7, v17
	v_cmp_ne_u32_e64 s0, 0, v12
	v_add_co_u32 v3, vcc_lo, v6, s24
	s_wait_alu 0xfffd
	v_add_co_ci_u32_e32 v4, vcc_lo, s25, v7, vcc_lo
	v_cmp_lt_i32_e32 vcc_lo, 5, v22
	s_wait_alu 0xf1ff
	v_cndmask_b32_e64 v12, 0, 1, s0
	v_cmp_eq_u32_e64 s0, 3, v22
	v_cndmask_b32_e64 v19, v19, v10, s1
	v_lshrrev_b32_e32 v10, 2, v17
	v_sub_nc_u32_e32 v17, 0x3f1, v26
	v_and_or_b32 v12, 0xffe, v25, v12
	s_or_b32 vcc_lo, s0, vcc_lo
	v_lshrrev_b32_e32 v22, 16, v11
	s_wait_alu 0xfffe
	v_add_co_ci_u32_e32 v10, vcc_lo, 0, v10, vcc_lo
	v_cmp_ne_u32_e32 vcc_lo, 0, v23
	v_or_b32_e32 v21, 0x1000, v12
	v_med3_i32 v17, v17, 0, 13
	v_cvt_f32_f16_e32 v1, v1
	v_and_or_b32 v19, 0x8000, v22, v19
	s_wait_alu 0xfffd
	v_cndmask_b32_e64 v11, 0, 1, vcc_lo
	v_cmp_gt_i32_e32 vcc_lo, 31, v20
	v_and_or_b32 v8, 0x1ff, v9, v8
	v_lshrrev_b32_e32 v23, v17, v21
	v_lshrrev_b32_e32 v27, 8, v9
	v_lshl_or_b32 v25, v11, 9, 0x7c00
	s_wait_alu 0xfffd
	v_cndmask_b32_e32 v24, 0x7c00, v10, vcc_lo
	v_mul_f64_e32 v[10:11], s[26:27], v[14:15]
	v_cmp_ne_u32_e32 vcc_lo, 0, v8
	v_lshlrev_b32_e32 v17, v17, v23
	v_bfe_u32 v28, v9, 20, 11
	v_cvt_f64_f32_e32 v[14:15], v1
	global_store_b32 v[6:7], v18, off
	global_store_b32 v[3:4], v16, off
	s_wait_alu 0xfffd
	v_cndmask_b32_e64 v8, 0, 1, vcc_lo
	v_cmp_eq_u32_e32 vcc_lo, 0x40f, v20
	v_add_nc_u32_e32 v16, 0xfffffc10, v28
	v_lshrrev_b32_e32 v13, 16, v13
	v_lshrrev_b32_e32 v9, 16, v9
	v_and_or_b32 v20, 0xffe, v27, v8
	s_wait_alu 0xfffd
	v_cndmask_b32_e32 v1, v24, v25, vcc_lo
	v_sub_nc_u32_e32 v8, 0x3f1, v28
	v_cmp_ne_u32_e32 vcc_lo, v17, v21
	v_add_nc_u32_e32 v21, 0xfffffc10, v26
	v_or_b32_e32 v24, 0x1000, v20
	v_lshrrev_b32_e32 v25, 16, v0
	v_med3_i32 v8, v8, 0, 13
	s_wait_alu 0xfffd
	v_cndmask_b32_e64 v17, 0, 1, vcc_lo
	v_cmp_gt_i32_e32 vcc_lo, 1, v21
	v_and_or_b32 v1, 0x8000, v5, v1
	v_mul_f16_e32 v22, v40, v25
	v_lshrrev_b32_e32 v26, v8, v24
	v_or_b32_e32 v17, v23, v17
	v_lshl_or_b32 v23, v21, 12, v12
	s_delay_alu instid0(VALU_DEP_4) | instskip(NEXT) | instid1(VALU_DEP_4)
	v_fmac_f16_e32 v22, v38, v0
	v_lshlrev_b32_e32 v5, v8, v26
	s_wait_alu 0xfffd
	s_delay_alu instid0(VALU_DEP_3) | instskip(SKIP_3) | instid1(VALU_DEP_4)
	v_dual_cndmask_b32 v17, v23, v17 :: v_dual_and_b32 v8, 0xffff, v19
	v_mul_f16_e32 v0, v40, v0
	v_cvt_f32_f16_e32 v6, v22
	v_cmp_ne_u32_e64 s0, v5, v24
	v_lshl_or_b32 v1, v1, 16, v8
	v_and_b32_e32 v19, 7, v17
	v_lshrrev_b32_e32 v17, 2, v17
	v_cvt_f64_f32_e32 v[5:6], v6
	s_wait_alu 0xf1ff
	v_cndmask_b32_e64 v7, 0, 1, s0
	v_and_or_b32 v10, 0x1ff, v11, v10
	v_cmp_lt_i32_e32 vcc_lo, 5, v19
	v_cmp_eq_u32_e64 s0, 3, v19
	v_lshl_or_b32 v19, v16, 12, v20
	v_or_b32_e32 v18, v26, v7
	v_cmp_ne_u32_e64 s1, 0, v10
	v_mul_f64_e32 v[7:8], s[26:27], v[14:15]
	s_or_b32 vcc_lo, s0, vcc_lo
	v_lshrrev_b32_e32 v14, 8, v11
	s_wait_alu 0xfffe
	v_add_co_ci_u32_e32 v17, vcc_lo, 0, v17, vcc_lo
	v_cmp_gt_i32_e32 vcc_lo, 1, v16
	v_cndmask_b32_e64 v10, 0, 1, s1
	v_bfe_u32 v15, v11, 20, 11
	v_cmp_eq_u32_e64 s1, 0x40f, v21
	v_fma_f16 v0, v38, v25, -v0
	s_wait_alu 0xfffd
	v_cndmask_b32_e32 v18, v19, v18, vcc_lo
	v_cmp_ne_u32_e32 vcc_lo, 0, v12
	v_and_or_b32 v14, 0xffe, v14, v10
	v_sub_nc_u32_e32 v10, 0x3f1, v15
	v_cvt_f32_f16_e32 v0, v0
	v_and_b32_e32 v19, 7, v18
	s_wait_alu 0xfffd
	v_cndmask_b32_e64 v12, 0, 1, vcc_lo
	v_cmp_gt_i32_e32 vcc_lo, 31, v21
	v_or_b32_e32 v22, 0x1000, v14
	v_med3_i32 v10, v10, 0, 13
	v_cmp_eq_u32_e64 s0, 3, v19
	v_lshl_or_b32 v12, v12, 9, 0x7c00
	s_wait_alu 0xfffd
	v_cndmask_b32_e32 v17, 0x7c00, v17, vcc_lo
	v_cmp_lt_i32_e32 vcc_lo, 5, v19
	v_lshrrev_b32_e32 v18, 2, v18
	v_lshrrev_b32_e32 v23, v10, v22
	v_add_nc_u32_e32 v19, 0xfffffc10, v15
	s_wait_alu 0xf1ff
	v_cndmask_b32_e64 v12, v17, v12, s1
	s_or_b32 vcc_lo, s0, vcc_lo
	v_lshrrev_b32_e32 v21, 16, v2
	s_wait_alu 0xfffe
	v_add_co_ci_u32_e32 v17, vcc_lo, 0, v18, vcc_lo
	v_lshlrev_b32_e32 v10, v10, v23
	v_cmp_ne_u32_e32 vcc_lo, 0, v20
	v_mul_f64_e32 v[5:6], s[26:27], v[5:6]
	v_and_or_b32 v20, 0x8000, v13, v12
	v_cvt_f64_f32_e32 v[12:13], v0
	s_wait_alu 0xfffd
	v_cndmask_b32_e64 v18, 0, 1, vcc_lo
	v_cmp_ne_u32_e32 vcc_lo, v10, v22
	v_and_or_b32 v7, 0x1ff, v8, v7
	v_bfe_u32 v0, v8, 20, 11
	v_and_b32_e32 v20, 0xffff, v20
	s_wait_alu 0xfffd
	v_cndmask_b32_e64 v10, 0, 1, vcc_lo
	v_cmp_gt_i32_e32 vcc_lo, 31, v16
	s_delay_alu instid0(VALU_DEP_2)
	v_or_b32_e32 v10, v23, v10
	s_wait_alu 0xfffd
	v_cndmask_b32_e32 v15, 0x7c00, v17, vcc_lo
	v_lshl_or_b32 v17, v18, 9, 0x7c00
	v_lshl_or_b32 v18, v19, 12, v14
	v_cmp_gt_i32_e32 vcc_lo, 1, v19
	s_wait_alu 0xfffd
	s_delay_alu instid0(VALU_DEP_2)
	v_cndmask_b32_e32 v10, v18, v10, vcc_lo
	v_cmp_ne_u32_e32 vcc_lo, 0, v7
	v_lshrrev_b32_e32 v18, 8, v8
	s_wait_alu 0xfffd
	v_cndmask_b32_e64 v7, 0, 1, vcc_lo
	v_cmp_eq_u32_e32 vcc_lo, 0x40f, v16
	v_and_b32_e32 v16, 7, v10
	s_delay_alu instid0(VALU_DEP_3)
	v_and_or_b32 v7, 0xffe, v18, v7
	v_mul_f16_e32 v18, v39, v21
	s_wait_alu 0xfffd
	v_cndmask_b32_e32 v15, v15, v17, vcc_lo
	v_sub_nc_u32_e32 v17, 0x3f1, v0
	v_cmp_lt_i32_e32 vcc_lo, 5, v16
	v_cmp_eq_u32_e64 s0, 3, v16
	v_fmac_f16_e32 v18, v37, v2
	v_and_or_b32 v16, 0x8000, v9, v15
	v_lshrrev_b32_e32 v9, 2, v10
	v_or_b32_e32 v22, 0x1000, v7
	v_med3_i32 v17, v17, 0, 13
	v_cvt_f32_f16_e32 v10, v18
	s_or_b32 vcc_lo, s0, vcc_lo
	v_and_or_b32 v5, 0x1ff, v6, v5
	s_wait_alu 0xfffe
	v_add_co_ci_u32_e32 v18, vcc_lo, 0, v9, vcc_lo
	v_cvt_f64_f32_e32 v[9:10], v10
	v_lshrrev_b32_e32 v15, v17, v22
	v_cmp_ne_u32_e32 vcc_lo, 0, v14
	v_mul_f16_e32 v2, v39, v2
	v_add_nc_u32_e32 v0, 0xfffffc10, v0
	v_lshrrev_b32_e32 v14, 8, v6
	v_lshlrev_b32_e32 v17, v17, v15
	s_wait_alu 0xfffd
	v_cndmask_b32_e64 v23, 0, 1, vcc_lo
	v_cmp_ne_u32_e32 vcc_lo, 0, v5
	v_fma_f16 v2, v37, v21, -v2
	v_bfe_u32 v21, v6, 20, 11
	v_mul_f64_e32 v[12:13], s[26:27], v[12:13]
	v_lshl_or_b32 v24, v0, 12, v7
	s_wait_alu 0xfffd
	v_cndmask_b32_e64 v5, 0, 1, vcc_lo
	v_cmp_ne_u32_e32 vcc_lo, v17, v22
	v_cvt_f32_f16_e32 v2, v2
	v_lshl_or_b32 v23, v23, 9, 0x7c00
	v_lshl_or_b32 v16, v16, 16, v20
	v_and_or_b32 v22, 0xffe, v14, v5
	s_wait_alu 0xfffd
	v_cndmask_b32_e64 v17, 0, 1, vcc_lo
	v_cmp_gt_i32_e32 vcc_lo, 31, v19
	v_sub_nc_u32_e32 v5, 0x3f1, v21
	v_lshrrev_b32_e32 v6, 16, v6
	v_or_b32_e32 v25, 0x1000, v22
	v_or_b32_e32 v17, v15, v17
	s_wait_alu 0xfffd
	v_cndmask_b32_e32 v18, 0x7c00, v18, vcc_lo
	v_cmp_gt_i32_e32 vcc_lo, 1, v0
	v_cvt_f64_f32_e32 v[14:15], v2
	v_med3_i32 v5, v5, 0, 13
	s_wait_alu 0xfffd
	v_cndmask_b32_e32 v17, v24, v17, vcc_lo
	v_add_co_u32 v2, vcc_lo, v3, s22
	s_wait_alu 0xfffd
	v_add_co_ci_u32_e32 v3, vcc_lo, s23, v4, vcc_lo
	s_delay_alu instid0(VALU_DEP_3) | instskip(SKIP_3) | instid1(VALU_DEP_4)
	v_and_b32_e32 v4, 7, v17
	v_cmp_eq_u32_e32 vcc_lo, 0x40f, v19
	v_lshrrev_b32_e32 v26, v5, v25
	v_lshrrev_b32_e32 v19, 16, v11
	v_cmp_eq_u32_e64 s0, 3, v4
	s_wait_alu 0xfffd
	v_cndmask_b32_e32 v18, v18, v23, vcc_lo
	v_cmp_lt_i32_e32 vcc_lo, 5, v4
	v_lshlrev_b32_e32 v24, v5, v26
	v_mul_f64_e32 v[4:5], s[26:27], v[9:10]
	v_lshrrev_b32_e32 v9, 2, v17
	v_add_nc_u32_e32 v17, 0xfffffc10, v21
	s_or_b32 vcc_lo, s0, vcc_lo
	v_cmp_ne_u32_e64 s1, v24, v25
	v_and_or_b32 v24, 0x1ff, v13, v12
	s_wait_alu 0xfffe
	v_add_co_ci_u32_e32 v9, vcc_lo, 0, v9, vcc_lo
	v_cmp_ne_u32_e32 vcc_lo, 0, v7
	s_wait_alu 0xf1ff
	v_cndmask_b32_e64 v10, 0, 1, s1
	v_lshl_or_b32 v21, v17, 12, v22
	v_and_or_b32 v18, 0x8000, v19, v18
	s_wait_alu 0xfffd
	v_cndmask_b32_e64 v7, 0, 1, vcc_lo
	v_cmp_gt_i32_e32 vcc_lo, 31, v0
	v_or_b32_e32 v20, v26, v10
	s_delay_alu instid0(VALU_DEP_3)
	v_lshl_or_b32 v7, v7, 9, 0x7c00
	s_wait_alu 0xfffd
	v_cndmask_b32_e32 v23, 0x7c00, v9, vcc_lo
	v_add_co_u32 v11, vcc_lo, v2, s24
	s_wait_alu 0xfffd
	v_add_co_ci_u32_e32 v12, vcc_lo, s25, v3, vcc_lo
	v_cmp_gt_i32_e32 vcc_lo, 1, v17
	v_mul_f64_e32 v[9:10], s[26:27], v[14:15]
	s_wait_alu 0xfffd
	v_cndmask_b32_e32 v14, v21, v20, vcc_lo
	v_cmp_ne_u32_e32 vcc_lo, 0, v24
	v_lshrrev_b32_e32 v20, 8, v13
	v_bfe_u32 v21, v13, 20, 11
	v_lshrrev_b32_e32 v13, 16, v13
	s_wait_alu 0xfffd
	v_cndmask_b32_e64 v15, 0, 1, vcc_lo
	v_cmp_eq_u32_e32 vcc_lo, 0x40f, v0
	v_and_or_b32 v4, 0x1ff, v5, v4
	s_delay_alu instid0(VALU_DEP_3)
	v_and_or_b32 v15, 0xffe, v20, v15
	s_wait_alu 0xfffd
	v_cndmask_b32_e32 v0, v23, v7, vcc_lo
	v_lshrrev_b32_e32 v7, 16, v8
	v_and_b32_e32 v8, 7, v14
	v_sub_nc_u32_e32 v20, 0x3f1, v21
	v_bfe_u32 v23, v5, 20, 11
	s_delay_alu instid0(VALU_DEP_4) | instskip(NEXT) | instid1(VALU_DEP_4)
	v_and_or_b32 v0, 0x8000, v7, v0
	v_cmp_lt_i32_e32 vcc_lo, 5, v8
	v_cmp_eq_u32_e64 s0, 3, v8
	v_lshrrev_b32_e32 v8, 2, v14
	v_or_b32_e32 v7, 0x1000, v15
	v_med3_i32 v19, v20, 0, 13
	v_and_b32_e32 v14, 0xffff, v18
	s_or_b32 vcc_lo, s0, vcc_lo
	v_lshrrev_b32_e32 v20, 8, v5
	s_wait_alu 0xfffe
	v_add_co_ci_u32_e32 v8, vcc_lo, 0, v8, vcc_lo
	v_lshrrev_b32_e32 v18, v19, v7
	v_cmp_ne_u32_e32 vcc_lo, 0, v4
	v_lshrrev_b32_e32 v5, 16, v5
	v_lshl_or_b32 v0, v0, 16, v14
	s_delay_alu instid0(VALU_DEP_4)
	v_lshlrev_b32_e32 v19, v19, v18
	s_wait_alu 0xfffd
	v_cndmask_b32_e64 v4, 0, 1, vcc_lo
	v_cmp_ne_u32_e32 vcc_lo, 0, v22
	v_and_or_b32 v9, 0x1ff, v10, v9
	v_lshrrev_b32_e32 v24, 8, v10
	v_bfe_u32 v25, v10, 20, 11
	v_and_or_b32 v4, 0xffe, v20, v4
	s_wait_alu 0xfffd
	v_cndmask_b32_e64 v22, 0, 1, vcc_lo
	v_cmp_ne_u32_e32 vcc_lo, v19, v7
	v_sub_nc_u32_e32 v20, 0x3f1, v23
	v_add_nc_u32_e32 v19, 0xfffffc10, v21
	v_or_b32_e32 v21, 0x1000, v4
	s_wait_alu 0xfffd
	v_cndmask_b32_e64 v7, 0, 1, vcc_lo
	v_cmp_gt_i32_e32 vcc_lo, 31, v17
	v_med3_i32 v20, v20, 0, 13
	s_delay_alu instid0(VALU_DEP_3)
	v_or_b32_e32 v7, v18, v7
	s_wait_alu 0xfffd
	v_cndmask_b32_e32 v8, 0x7c00, v8, vcc_lo
	v_cmp_ne_u32_e32 vcc_lo, 0, v9
	v_lshl_or_b32 v18, v19, 12, v15
	v_lshrrev_b32_e32 v26, v20, v21
	s_wait_alu 0xfffd
	v_cndmask_b32_e64 v9, 0, 1, vcc_lo
	v_cmp_gt_i32_e32 vcc_lo, 1, v19
	s_delay_alu instid0(VALU_DEP_3) | instskip(NEXT) | instid1(VALU_DEP_3)
	v_lshlrev_b32_e32 v20, v20, v26
	v_and_or_b32 v9, 0xffe, v24, v9
	v_sub_nc_u32_e32 v24, 0x3f1, v25
	s_wait_alu 0xfffd
	v_cndmask_b32_e32 v7, v18, v7, vcc_lo
	v_lshl_or_b32 v18, v22, 9, 0x7c00
	v_cmp_eq_u32_e32 vcc_lo, 0x40f, v17
	v_or_b32_e32 v22, 0x1000, v9
	v_med3_i32 v24, v24, 0, 13
	v_and_b32_e32 v27, 7, v7
	v_lshrrev_b32_e32 v7, 2, v7
	s_wait_alu 0xfffd
	v_cndmask_b32_e32 v8, v8, v18, vcc_lo
	v_cmp_ne_u32_e32 vcc_lo, v20, v21
	v_add_nc_u32_e32 v18, 0xfffffc10, v23
	v_lshrrev_b32_e32 v20, v24, v22
	v_cmp_eq_u32_e64 s0, 3, v27
	v_and_or_b32 v6, 0x8000, v6, v8
	s_wait_alu 0xfffd
	v_cndmask_b32_e64 v17, 0, 1, vcc_lo
	v_lshl_or_b32 v21, v18, 12, v4
	v_lshlrev_b32_e32 v23, v24, v20
	v_cmp_gt_i32_e64 s1, 1, v18
	v_cmp_lt_i32_e32 vcc_lo, 5, v27
	v_or_b32_e32 v17, v26, v17
	v_and_b32_e32 v6, 0xffff, v6
	s_or_b32 vcc_lo, s0, vcc_lo
	s_delay_alu instid0(VALU_DEP_2)
	v_cndmask_b32_e64 v17, v21, v17, s1
	v_cmp_ne_u32_e64 s1, v23, v22
	v_add_nc_u32_e32 v22, 0xfffffc10, v25
	s_wait_alu 0xfffe
	v_add_co_ci_u32_e32 v7, vcc_lo, 0, v7, vcc_lo
	v_and_b32_e32 v23, 7, v17
	s_wait_alu 0xf1ff
	v_cndmask_b32_e64 v21, 0, 1, s1
	v_cmp_ne_u32_e32 vcc_lo, 0, v15
	v_cmp_gt_i32_e64 s0, 1, v22
	v_lshrrev_b32_e32 v17, 2, v17
	v_cmp_gt_i32_e64 s1, 31, v19
	v_or_b32_e32 v20, v20, v21
	v_lshl_or_b32 v21, v22, 12, v9
	s_wait_alu 0xfffd
	v_cndmask_b32_e64 v15, 0, 1, vcc_lo
	v_cmp_lt_i32_e32 vcc_lo, 5, v23
	s_wait_alu 0xf1ff
	v_cndmask_b32_e64 v7, 0x7c00, v7, s1
	v_cmp_eq_u32_e64 s1, 0x40f, v19
	v_cndmask_b32_e64 v8, v21, v20, s0
	v_cmp_eq_u32_e64 s0, 3, v23
	v_lshl_or_b32 v15, v15, 9, 0x7c00
	s_delay_alu instid0(VALU_DEP_3) | instskip(NEXT) | instid1(VALU_DEP_3)
	v_and_b32_e32 v20, 7, v8
	s_or_b32 vcc_lo, s0, vcc_lo
	v_lshrrev_b32_e32 v8, 2, v8
	s_wait_alu 0xfffe
	v_add_co_ci_u32_e32 v17, vcc_lo, 0, v17, vcc_lo
	v_cmp_ne_u32_e32 vcc_lo, 0, v4
	v_cmp_eq_u32_e64 s0, 3, v20
	v_cndmask_b32_e64 v7, v7, v15, s1
	v_cmp_gt_i32_e64 s1, 31, v18
	s_wait_alu 0xfffd
	v_cndmask_b32_e64 v4, 0, 1, vcc_lo
	v_cmp_lt_i32_e32 vcc_lo, 5, v20
	v_and_or_b32 v7, 0x8000, v13, v7
	s_wait_alu 0xf1ff
	v_cndmask_b32_e64 v15, 0x7c00, v17, s1
	v_lshl_or_b32 v4, v4, 9, 0x7c00
	s_or_b32 vcc_lo, s0, vcc_lo
	s_wait_alu 0xfffe
	v_add_co_ci_u32_e32 v8, vcc_lo, 0, v8, vcc_lo
	v_cmp_ne_u32_e32 vcc_lo, 0, v9
	s_wait_alu 0xfffd
	v_cndmask_b32_e64 v9, 0, 1, vcc_lo
	v_cmp_eq_u32_e32 vcc_lo, 0x40f, v18
	s_delay_alu instid0(VALU_DEP_2) | instskip(SKIP_3) | instid1(VALU_DEP_2)
	v_lshl_or_b32 v9, v9, 9, 0x7c00
	s_wait_alu 0xfffd
	v_cndmask_b32_e32 v4, v15, v4, vcc_lo
	v_cmp_gt_i32_e32 vcc_lo, 31, v22
	v_and_or_b32 v13, 0x8000, v5, v4
	s_wait_alu 0xfffd
	v_cndmask_b32_e32 v8, 0x7c00, v8, vcc_lo
	v_cmp_eq_u32_e32 vcc_lo, 0x40f, v22
	s_wait_alu 0xfffd
	s_delay_alu instid0(VALU_DEP_2)
	v_cndmask_b32_e32 v8, v8, v9, vcc_lo
	v_lshrrev_b32_e32 v9, 16, v10
	v_add_co_u32 v4, vcc_lo, v11, s22
	s_wait_alu 0xfffd
	v_add_co_ci_u32_e32 v5, vcc_lo, s23, v12, vcc_lo
	v_lshl_or_b32 v10, v7, 16, v6
	v_and_or_b32 v8, 0x8000, v9, v8
	v_and_b32_e32 v9, 0xffff, v13
	v_add_co_u32 v6, vcc_lo, v4, s24
	s_wait_alu 0xfffd
	v_add_co_ci_u32_e32 v7, vcc_lo, s25, v5, vcc_lo
	s_delay_alu instid0(VALU_DEP_3) | instskip(NEXT) | instid1(VALU_DEP_3)
	v_lshl_or_b32 v13, v8, 16, v9
	v_add_co_u32 v8, vcc_lo, v6, s22
	s_wait_alu 0xfffd
	s_delay_alu instid0(VALU_DEP_3)
	v_add_co_ci_u32_e32 v9, vcc_lo, s23, v7, vcc_lo
	global_store_b32 v[2:3], v1, off
	global_store_b32 v[11:12], v16, off
	;; [unrolled: 1-line block ×5, first 2 shown]
.LBB0_2:
	s_nop 0
	s_sendmsg sendmsg(MSG_DEALLOC_VGPRS)
	s_endpgm
	.section	.rodata,"a",@progbits
	.p2align	6, 0x0
	.amdhsa_kernel bluestein_single_back_len1372_dim1_half_op_CI_CI
		.amdhsa_group_segment_fixed_size 10976
		.amdhsa_private_segment_fixed_size 0
		.amdhsa_kernarg_size 104
		.amdhsa_user_sgpr_count 2
		.amdhsa_user_sgpr_dispatch_ptr 0
		.amdhsa_user_sgpr_queue_ptr 0
		.amdhsa_user_sgpr_kernarg_segment_ptr 1
		.amdhsa_user_sgpr_dispatch_id 0
		.amdhsa_user_sgpr_private_segment_size 0
		.amdhsa_wavefront_size32 1
		.amdhsa_uses_dynamic_stack 0
		.amdhsa_enable_private_segment 0
		.amdhsa_system_sgpr_workgroup_id_x 1
		.amdhsa_system_sgpr_workgroup_id_y 0
		.amdhsa_system_sgpr_workgroup_id_z 0
		.amdhsa_system_sgpr_workgroup_info 0
		.amdhsa_system_vgpr_workitem_id 0
		.amdhsa_next_free_vgpr 167
		.amdhsa_next_free_sgpr 28
		.amdhsa_reserve_vcc 1
		.amdhsa_float_round_mode_32 0
		.amdhsa_float_round_mode_16_64 0
		.amdhsa_float_denorm_mode_32 3
		.amdhsa_float_denorm_mode_16_64 3
		.amdhsa_fp16_overflow 0
		.amdhsa_workgroup_processor_mode 1
		.amdhsa_memory_ordered 1
		.amdhsa_forward_progress 0
		.amdhsa_round_robin_scheduling 0
		.amdhsa_exception_fp_ieee_invalid_op 0
		.amdhsa_exception_fp_denorm_src 0
		.amdhsa_exception_fp_ieee_div_zero 0
		.amdhsa_exception_fp_ieee_overflow 0
		.amdhsa_exception_fp_ieee_underflow 0
		.amdhsa_exception_fp_ieee_inexact 0
		.amdhsa_exception_int_div_zero 0
	.end_amdhsa_kernel
	.text
.Lfunc_end0:
	.size	bluestein_single_back_len1372_dim1_half_op_CI_CI, .Lfunc_end0-bluestein_single_back_len1372_dim1_half_op_CI_CI
                                        ; -- End function
	.section	.AMDGPU.csdata,"",@progbits
; Kernel info:
; codeLenInByte = 24896
; NumSgprs: 30
; NumVgprs: 167
; ScratchSize: 0
; MemoryBound: 0
; FloatMode: 240
; IeeeMode: 1
; LDSByteSize: 10976 bytes/workgroup (compile time only)
; SGPRBlocks: 3
; VGPRBlocks: 20
; NumSGPRsForWavesPerEU: 30
; NumVGPRsForWavesPerEU: 167
; Occupancy: 9
; WaveLimiterHint : 1
; COMPUTE_PGM_RSRC2:SCRATCH_EN: 0
; COMPUTE_PGM_RSRC2:USER_SGPR: 2
; COMPUTE_PGM_RSRC2:TRAP_HANDLER: 0
; COMPUTE_PGM_RSRC2:TGID_X_EN: 1
; COMPUTE_PGM_RSRC2:TGID_Y_EN: 0
; COMPUTE_PGM_RSRC2:TGID_Z_EN: 0
; COMPUTE_PGM_RSRC2:TIDIG_COMP_CNT: 0
	.text
	.p2alignl 7, 3214868480
	.fill 96, 4, 3214868480
	.type	__hip_cuid_88c61997b4fd09c9,@object ; @__hip_cuid_88c61997b4fd09c9
	.section	.bss,"aw",@nobits
	.globl	__hip_cuid_88c61997b4fd09c9
__hip_cuid_88c61997b4fd09c9:
	.byte	0                               ; 0x0
	.size	__hip_cuid_88c61997b4fd09c9, 1

	.ident	"AMD clang version 19.0.0git (https://github.com/RadeonOpenCompute/llvm-project roc-6.4.0 25133 c7fe45cf4b819c5991fe208aaa96edf142730f1d)"
	.section	".note.GNU-stack","",@progbits
	.addrsig
	.addrsig_sym __hip_cuid_88c61997b4fd09c9
	.amdgpu_metadata
---
amdhsa.kernels:
  - .args:
      - .actual_access:  read_only
        .address_space:  global
        .offset:         0
        .size:           8
        .value_kind:     global_buffer
      - .actual_access:  read_only
        .address_space:  global
        .offset:         8
        .size:           8
        .value_kind:     global_buffer
      - .actual_access:  read_only
        .address_space:  global
        .offset:         16
        .size:           8
        .value_kind:     global_buffer
      - .actual_access:  read_only
        .address_space:  global
        .offset:         24
        .size:           8
        .value_kind:     global_buffer
      - .actual_access:  read_only
        .address_space:  global
        .offset:         32
        .size:           8
        .value_kind:     global_buffer
      - .offset:         40
        .size:           8
        .value_kind:     by_value
      - .address_space:  global
        .offset:         48
        .size:           8
        .value_kind:     global_buffer
      - .address_space:  global
        .offset:         56
        .size:           8
        .value_kind:     global_buffer
      - .address_space:  global
        .offset:         64
        .size:           8
        .value_kind:     global_buffer
      - .address_space:  global
        .offset:         72
        .size:           8
        .value_kind:     global_buffer
      - .offset:         80
        .size:           4
        .value_kind:     by_value
      - .address_space:  global
        .offset:         88
        .size:           8
        .value_kind:     global_buffer
      - .address_space:  global
        .offset:         96
        .size:           8
        .value_kind:     global_buffer
    .group_segment_fixed_size: 10976
    .kernarg_segment_align: 8
    .kernarg_segment_size: 104
    .language:       OpenCL C
    .language_version:
      - 2
      - 0
    .max_flat_workgroup_size: 196
    .name:           bluestein_single_back_len1372_dim1_half_op_CI_CI
    .private_segment_fixed_size: 0
    .sgpr_count:     30
    .sgpr_spill_count: 0
    .symbol:         bluestein_single_back_len1372_dim1_half_op_CI_CI.kd
    .uniform_work_group_size: 1
    .uses_dynamic_stack: false
    .vgpr_count:     167
    .vgpr_spill_count: 0
    .wavefront_size: 32
    .workgroup_processor_mode: 1
amdhsa.target:   amdgcn-amd-amdhsa--gfx1201
amdhsa.version:
  - 1
  - 2
...

	.end_amdgpu_metadata
